;; amdgpu-corpus repo=ROCm/rocFFT kind=compiled arch=gfx950 opt=O3
	.text
	.amdgcn_target "amdgcn-amd-amdhsa--gfx950"
	.amdhsa_code_object_version 6
	.protected	fft_rtc_back_len1680_factors_2_2_2_2_3_7_5_wgs_112_tpt_112_halfLds_dp_ip_CI_unitstride_sbrr_R2C_dirReg ; -- Begin function fft_rtc_back_len1680_factors_2_2_2_2_3_7_5_wgs_112_tpt_112_halfLds_dp_ip_CI_unitstride_sbrr_R2C_dirReg
	.globl	fft_rtc_back_len1680_factors_2_2_2_2_3_7_5_wgs_112_tpt_112_halfLds_dp_ip_CI_unitstride_sbrr_R2C_dirReg
	.p2align	8
	.type	fft_rtc_back_len1680_factors_2_2_2_2_3_7_5_wgs_112_tpt_112_halfLds_dp_ip_CI_unitstride_sbrr_R2C_dirReg,@function
fft_rtc_back_len1680_factors_2_2_2_2_3_7_5_wgs_112_tpt_112_halfLds_dp_ip_CI_unitstride_sbrr_R2C_dirReg: ; @fft_rtc_back_len1680_factors_2_2_2_2_3_7_5_wgs_112_tpt_112_halfLds_dp_ip_CI_unitstride_sbrr_R2C_dirReg
; %bb.0:
	s_load_dwordx2 s[8:9], s[0:1], 0x50
	s_load_dwordx4 s[4:7], s[0:1], 0x0
	s_load_dwordx2 s[10:11], s[0:1], 0x18
	v_mul_u32_u24_e32 v1, 0x24a, v0
	v_add_u32_sdwa v6, s2, v1 dst_sel:DWORD dst_unused:UNUSED_PAD src0_sel:DWORD src1_sel:WORD_1
	v_mov_b32_e32 v4, 0
	s_waitcnt lgkmcnt(0)
	v_cmp_lt_u64_e64 s[2:3], s[6:7], 2
	v_mov_b32_e32 v7, v4
	s_and_b64 vcc, exec, s[2:3]
	v_mov_b64_e32 v[2:3], 0
	s_cbranch_vccnz .LBB0_8
; %bb.1:
	s_load_dwordx2 s[2:3], s[0:1], 0x10
	s_add_u32 s12, s10, 8
	s_addc_u32 s13, s11, 0
	s_mov_b64 s[14:15], 1
	v_mov_b64_e32 v[2:3], 0
	s_waitcnt lgkmcnt(0)
	s_add_u32 s16, s2, 8
	s_addc_u32 s17, s3, 0
.LBB0_2:                                ; =>This Inner Loop Header: Depth=1
	s_load_dwordx2 s[18:19], s[16:17], 0x0
                                        ; implicit-def: $vgpr8_vgpr9
	s_waitcnt lgkmcnt(0)
	v_or_b32_e32 v5, s19, v7
	v_cmp_ne_u64_e32 vcc, 0, v[4:5]
	s_and_saveexec_b64 s[2:3], vcc
	s_xor_b64 s[20:21], exec, s[2:3]
	s_cbranch_execz .LBB0_4
; %bb.3:                                ;   in Loop: Header=BB0_2 Depth=1
	v_cvt_f32_u32_e32 v1, s18
	v_cvt_f32_u32_e32 v5, s19
	s_sub_u32 s2, 0, s18
	s_subb_u32 s3, 0, s19
	v_fmac_f32_e32 v1, 0x4f800000, v5
	v_rcp_f32_e32 v1, v1
	s_nop 0
	v_mul_f32_e32 v1, 0x5f7ffffc, v1
	v_mul_f32_e32 v5, 0x2f800000, v1
	v_trunc_f32_e32 v5, v5
	v_fmac_f32_e32 v1, 0xcf800000, v5
	v_cvt_u32_f32_e32 v5, v5
	v_cvt_u32_f32_e32 v1, v1
	v_mul_lo_u32 v8, s2, v5
	v_mul_hi_u32 v10, s2, v1
	v_mul_lo_u32 v9, s3, v1
	v_add_u32_e32 v10, v10, v8
	v_mul_lo_u32 v12, s2, v1
	v_add_u32_e32 v13, v10, v9
	v_mul_hi_u32 v8, v1, v12
	v_mul_hi_u32 v11, v1, v13
	v_mul_lo_u32 v10, v1, v13
	v_mov_b32_e32 v9, v4
	v_lshl_add_u64 v[8:9], v[8:9], 0, v[10:11]
	v_mul_hi_u32 v11, v5, v12
	v_mul_lo_u32 v12, v5, v12
	v_add_co_u32_e32 v8, vcc, v8, v12
	v_mul_hi_u32 v10, v5, v13
	s_nop 0
	v_addc_co_u32_e32 v8, vcc, v9, v11, vcc
	v_mov_b32_e32 v9, v4
	s_nop 0
	v_addc_co_u32_e32 v11, vcc, 0, v10, vcc
	v_mul_lo_u32 v10, v5, v13
	v_lshl_add_u64 v[8:9], v[8:9], 0, v[10:11]
	v_add_co_u32_e32 v1, vcc, v1, v8
	v_mul_lo_u32 v10, s2, v1
	s_nop 0
	v_addc_co_u32_e32 v5, vcc, v5, v9, vcc
	v_mul_lo_u32 v8, s2, v5
	v_mul_hi_u32 v9, s2, v1
	v_add_u32_e32 v8, v9, v8
	v_mul_lo_u32 v9, s3, v1
	v_add_u32_e32 v12, v8, v9
	v_mul_hi_u32 v14, v5, v10
	v_mul_lo_u32 v15, v5, v10
	v_mul_hi_u32 v9, v1, v12
	v_mul_lo_u32 v8, v1, v12
	v_mul_hi_u32 v10, v1, v10
	v_mov_b32_e32 v11, v4
	v_lshl_add_u64 v[8:9], v[10:11], 0, v[8:9]
	v_add_co_u32_e32 v8, vcc, v8, v15
	v_mul_hi_u32 v13, v5, v12
	s_nop 0
	v_addc_co_u32_e32 v8, vcc, v9, v14, vcc
	v_mul_lo_u32 v10, v5, v12
	s_nop 0
	v_addc_co_u32_e32 v11, vcc, 0, v13, vcc
	v_mov_b32_e32 v9, v4
	v_lshl_add_u64 v[8:9], v[8:9], 0, v[10:11]
	v_add_co_u32_e32 v1, vcc, v1, v8
	v_mul_hi_u32 v10, v6, v1
	s_nop 0
	v_addc_co_u32_e32 v5, vcc, v5, v9, vcc
	v_mad_u64_u32 v[8:9], s[2:3], v6, v5, 0
	v_mov_b32_e32 v11, v4
	v_lshl_add_u64 v[8:9], v[10:11], 0, v[8:9]
	v_mad_u64_u32 v[12:13], s[2:3], v7, v1, 0
	v_add_co_u32_e32 v1, vcc, v8, v12
	v_mad_u64_u32 v[10:11], s[2:3], v7, v5, 0
	s_nop 0
	v_addc_co_u32_e32 v8, vcc, v9, v13, vcc
	v_mov_b32_e32 v9, v4
	s_nop 0
	v_addc_co_u32_e32 v11, vcc, 0, v11, vcc
	v_lshl_add_u64 v[8:9], v[8:9], 0, v[10:11]
	v_mul_lo_u32 v1, s19, v8
	v_mul_lo_u32 v5, s18, v9
	v_mad_u64_u32 v[10:11], s[2:3], s18, v8, 0
	v_add3_u32 v1, v11, v5, v1
	v_sub_u32_e32 v5, v7, v1
	v_mov_b32_e32 v11, s19
	v_sub_co_u32_e32 v14, vcc, v6, v10
	v_lshl_add_u64 v[12:13], v[8:9], 0, 1
	s_nop 0
	v_subb_co_u32_e64 v5, s[2:3], v5, v11, vcc
	v_subrev_co_u32_e64 v10, s[2:3], s18, v14
	v_subb_co_u32_e32 v1, vcc, v7, v1, vcc
	s_nop 0
	v_subbrev_co_u32_e64 v5, s[2:3], 0, v5, s[2:3]
	v_cmp_le_u32_e64 s[2:3], s19, v5
	v_cmp_le_u32_e32 vcc, s19, v1
	s_nop 0
	v_cndmask_b32_e64 v11, 0, -1, s[2:3]
	v_cmp_le_u32_e64 s[2:3], s18, v10
	s_nop 1
	v_cndmask_b32_e64 v10, 0, -1, s[2:3]
	v_cmp_eq_u32_e64 s[2:3], s19, v5
	s_nop 1
	v_cndmask_b32_e64 v5, v11, v10, s[2:3]
	v_lshl_add_u64 v[10:11], v[8:9], 0, 2
	v_cmp_ne_u32_e64 s[2:3], 0, v5
	s_nop 1
	v_cndmask_b32_e64 v5, v13, v11, s[2:3]
	v_cndmask_b32_e64 v11, 0, -1, vcc
	v_cmp_le_u32_e32 vcc, s18, v14
	s_nop 1
	v_cndmask_b32_e64 v13, 0, -1, vcc
	v_cmp_eq_u32_e32 vcc, s19, v1
	s_nop 1
	v_cndmask_b32_e32 v1, v11, v13, vcc
	v_cmp_ne_u32_e32 vcc, 0, v1
	v_cndmask_b32_e64 v1, v12, v10, s[2:3]
	s_nop 0
	v_cndmask_b32_e32 v9, v9, v5, vcc
	v_cndmask_b32_e32 v8, v8, v1, vcc
.LBB0_4:                                ;   in Loop: Header=BB0_2 Depth=1
	s_andn2_saveexec_b64 s[2:3], s[20:21]
	s_cbranch_execz .LBB0_6
; %bb.5:                                ;   in Loop: Header=BB0_2 Depth=1
	v_cvt_f32_u32_e32 v1, s18
	s_sub_i32 s20, 0, s18
	v_rcp_iflag_f32_e32 v1, v1
	s_nop 0
	v_mul_f32_e32 v1, 0x4f7ffffe, v1
	v_cvt_u32_f32_e32 v1, v1
	v_mul_lo_u32 v5, s20, v1
	v_mul_hi_u32 v5, v1, v5
	v_add_u32_e32 v1, v1, v5
	v_mul_hi_u32 v1, v6, v1
	v_mul_lo_u32 v5, v1, s18
	v_sub_u32_e32 v5, v6, v5
	v_add_u32_e32 v8, 1, v1
	v_subrev_u32_e32 v9, s18, v5
	v_cmp_le_u32_e32 vcc, s18, v5
	s_nop 1
	v_cndmask_b32_e32 v5, v5, v9, vcc
	v_cndmask_b32_e32 v1, v1, v8, vcc
	v_add_u32_e32 v8, 1, v1
	v_cmp_le_u32_e32 vcc, s18, v5
	v_mov_b32_e32 v9, v4
	s_nop 0
	v_cndmask_b32_e32 v8, v1, v8, vcc
.LBB0_6:                                ;   in Loop: Header=BB0_2 Depth=1
	s_or_b64 exec, exec, s[2:3]
	v_mad_u64_u32 v[10:11], s[2:3], v8, s18, 0
	s_load_dwordx2 s[2:3], s[12:13], 0x0
	v_mul_lo_u32 v1, v9, s18
	v_mul_lo_u32 v5, v8, s19
	v_add3_u32 v1, v11, v5, v1
	v_sub_co_u32_e32 v5, vcc, v6, v10
	s_add_u32 s14, s14, 1
	s_nop 0
	v_subb_co_u32_e32 v1, vcc, v7, v1, vcc
	s_addc_u32 s15, s15, 0
	s_waitcnt lgkmcnt(0)
	v_mul_lo_u32 v1, s2, v1
	v_mul_lo_u32 v6, s3, v5
	v_mad_u64_u32 v[2:3], s[2:3], s2, v5, v[2:3]
	s_add_u32 s12, s12, 8
	v_add3_u32 v3, v6, v3, v1
	s_addc_u32 s13, s13, 0
	v_mov_b64_e32 v[6:7], s[6:7]
	s_add_u32 s16, s16, 8
	v_cmp_ge_u64_e32 vcc, s[14:15], v[6:7]
	s_addc_u32 s17, s17, 0
	s_cbranch_vccnz .LBB0_9
; %bb.7:                                ;   in Loop: Header=BB0_2 Depth=1
	v_mov_b64_e32 v[6:7], v[8:9]
	s_branch .LBB0_2
.LBB0_8:
	v_mov_b64_e32 v[8:9], v[6:7]
.LBB0_9:
	s_lshl_b64 s[2:3], s[6:7], 3
	s_add_u32 s2, s10, s2
	s_addc_u32 s3, s11, s3
	s_load_dwordx2 s[6:7], s[2:3], 0x0
	s_load_dwordx2 s[10:11], s[0:1], 0x20
	s_mov_b32 s2, 0x2492493
                                        ; implicit-def: $vgpr90
                                        ; implicit-def: $vgpr100
                                        ; implicit-def: $vgpr98
                                        ; implicit-def: $vgpr96
                                        ; implicit-def: $vgpr94
                                        ; implicit-def: $vgpr92
                                        ; implicit-def: $vgpr88
	s_waitcnt lgkmcnt(0)
	v_mul_lo_u32 v1, s6, v9
	v_mul_lo_u32 v4, s7, v8
	v_mad_u64_u32 v[2:3], s[0:1], s6, v8, v[2:3]
	v_add3_u32 v3, v4, v3, v1
	v_mul_hi_u32 v1, v0, s2
	v_mul_u32_u24_e32 v1, 0x70, v1
	v_cmp_gt_u64_e64 s[0:1], s[10:11], v[8:9]
	v_cmp_le_u64_e32 vcc, s[10:11], v[8:9]
	v_sub_u32_e32 v84, v0, v1
	s_and_saveexec_b64 s[2:3], vcc
	s_xor_b64 s[2:3], exec, s[2:3]
; %bb.10:
	v_add_u32_e32 v90, 0x70, v84
	v_add_u32_e32 v100, 0xe0, v84
	;; [unrolled: 1-line block ×7, first 2 shown]
; %bb.11:
	s_or_saveexec_b64 s[2:3], s[2:3]
	v_lshl_add_u64 v[86:87], v[2:3], 4, s[8:9]
	s_xor_b64 exec, exec, s[2:3]
	s_cbranch_execz .LBB0_13
; %bb.12:
	v_mov_b32_e32 v85, 0
	v_lshl_add_u64 v[48:49], v[84:85], 4, v[86:87]
	s_movk_i32 s6, 0x1000
	v_add_co_u32_e32 v40, vcc, s6, v48
	s_movk_i32 s7, 0x2000
	s_nop 0
	v_addc_co_u32_e32 v41, vcc, 0, v49, vcc
	v_add_co_u32_e32 v42, vcc, s7, v48
	s_movk_i32 s8, 0x3000
	s_nop 0
	v_addc_co_u32_e32 v43, vcc, 0, v49, vcc
	;; [unrolled: 4-line block ×3, first 2 shown]
	v_add_co_u32_e32 v50, vcc, s9, v48
	v_or_b32_e32 v8, 0x380, v84
	s_nop 0
	v_addc_co_u32_e32 v51, vcc, 0, v49, vcc
	v_add_co_u32_e32 v60, vcc, 0x5000, v48
	v_mov_b32_e32 v9, v85
	s_nop 0
	v_addc_co_u32_e32 v61, vcc, 0, v49, vcc
	v_lshl_add_u64 v[46:47], v[8:9], 4, v[86:87]
	v_add_co_u32_e32 v62, vcc, 0x6000, v48
	global_load_dwordx4 v[0:3], v[48:49], off
	global_load_dwordx4 v[4:7], v[48:49], off offset:1792
	global_load_dwordx4 v[8:11], v[48:49], off offset:3584
	global_load_dwordx4 v[12:15], v[40:41], off offset:1280
	global_load_dwordx4 v[16:19], v[40:41], off offset:3072
	global_load_dwordx4 v[20:23], v[42:43], off offset:768
	global_load_dwordx4 v[24:27], v[42:43], off offset:2560
	global_load_dwordx4 v[28:31], v[44:45], off offset:256
	global_load_dwordx4 v[32:35], v[46:47], off
	global_load_dwordx4 v[36:39], v[44:45], off offset:3840
	s_nop 0
	global_load_dwordx4 v[40:43], v[50:51], off offset:1536
	global_load_dwordx4 v[44:47], v[50:51], off offset:3328
	v_addc_co_u32_e32 v63, vcc, 0, v49, vcc
	global_load_dwordx4 v[48:51], v[60:61], off offset:1024
	global_load_dwordx4 v[52:55], v[60:61], off offset:2816
	;; [unrolled: 1-line block ×3, first 2 shown]
	v_lshl_add_u32 v60, v84, 4, 0
	v_add_u32_e32 v90, 0x70, v84
	v_add_u32_e32 v100, 0xe0, v84
	;; [unrolled: 1-line block ×7, first 2 shown]
	s_waitcnt vmcnt(14)
	ds_write_b128 v60, v[0:3]
	s_waitcnt vmcnt(13)
	ds_write_b128 v60, v[4:7] offset:1792
	s_waitcnt vmcnt(12)
	ds_write_b128 v60, v[8:11] offset:3584
	;; [unrolled: 2-line block ×14, first 2 shown]
.LBB0_13:
	s_or_b64 exec, exec, s[2:3]
	v_lshlrev_b32_e32 v85, 4, v84
	v_add_u32_e32 v104, 0, v85
	s_waitcnt lgkmcnt(0)
	s_barrier
	ds_read_b128 v[0:3], v104
	ds_read_b128 v[4:7], v104 offset:1792
	ds_read_b128 v[8:11], v104 offset:13440
	;; [unrolled: 1-line block ×15, first 2 shown]
	s_waitcnt lgkmcnt(13)
	v_add_f64 v[8:9], v[0:1], -v[8:9]
	v_add_f64 v[10:11], v[2:3], -v[10:11]
	v_fma_f64 v[0:1], v[0:1], 2.0, -v[8:9]
	v_fma_f64 v[2:3], v[2:3], 2.0, -v[10:11]
	v_add_u32_e32 v64, v104, v85
	s_waitcnt lgkmcnt(0)
	s_barrier
	ds_write_b128 v64, v[0:3]
	ds_write_b128 v64, v[8:11] offset:16
	v_add_f64 v[8:9], v[4:5], -v[12:13]
	v_add_f64 v[10:11], v[6:7], -v[14:15]
	v_add_f64 v[12:13], v[16:17], -v[24:25]
	v_add_f64 v[14:15], v[18:19], -v[26:27]
	v_add_f64 v[24:25], v[20:21], -v[28:29]
	v_add_f64 v[26:27], v[22:23], -v[30:31]
	v_add_f64 v[28:29], v[32:33], -v[40:41]
	v_add_f64 v[30:31], v[34:35], -v[42:43]
	v_fma_f64 v[40:41], v[32:33], 2.0, -v[28:29]
	v_fma_f64 v[42:43], v[34:35], 2.0, -v[30:31]
	v_add_f64 v[44:45], v[36:37], -v[44:45]
	v_add_f64 v[46:47], v[38:39], -v[46:47]
	;; [unrolled: 1-line block ×6, first 2 shown]
	v_fma_f64 v[4:5], v[4:5], 2.0, -v[8:9]
	v_fma_f64 v[6:7], v[6:7], 2.0, -v[10:11]
	;; [unrolled: 1-line block ×12, first 2 shown]
	v_lshl_add_u32 v72, v90, 5, 0
	v_lshl_add_u32 v73, v100, 5, 0
	;; [unrolled: 1-line block ×6, first 2 shown]
	v_cmp_gt_u32_e32 vcc, 56, v84
	ds_write_b128 v72, v[4:7]
	ds_write_b128 v72, v[8:11] offset:16
	ds_write_b128 v73, v[16:19]
	ds_write_b128 v73, v[12:15] offset:16
	;; [unrolled: 2-line block ×6, first 2 shown]
	s_and_saveexec_b64 s[2:3], vcc
	s_cbranch_execz .LBB0_15
; %bb.14:
	v_lshl_add_u32 v4, v88, 5, 0
	ds_write_b128 v4, v[0:3]
	ds_write_b128 v4, v[32:35] offset:16
.LBB0_15:
	s_or_b64 exec, exec, s[2:3]
	v_lshlrev_b32_e32 v70, 4, v90
	v_lshlrev_b32_e32 v71, 4, v100
	;; [unrolled: 1-line block ×6, first 2 shown]
	v_sub_u32_e32 v8, v72, v70
	v_sub_u32_e32 v9, v73, v71
	;; [unrolled: 1-line block ×6, first 2 shown]
	s_waitcnt lgkmcnt(0)
	s_barrier
	ds_read_b128 v[4:7], v104
	ds_read_b128 v[36:39], v104 offset:13440
	ds_read_b128 v[12:15], v8
	ds_read_b128 v[8:11], v9
	ds_read_b128 v[44:47], v104 offset:15232
	ds_read_b128 v[40:43], v104 offset:17024
	ds_read_b128 v[20:23], v16
	ds_read_b128 v[16:19], v17
	;; [unrolled: 1-line block ×4, first 2 shown]
	ds_read_b128 v[60:63], v104 offset:18816
	ds_read_b128 v[56:59], v104 offset:20608
	;; [unrolled: 1-line block ×4, first 2 shown]
	v_lshlrev_b32_e32 v68, 1, v90
	v_lshlrev_b32_e32 v69, 1, v100
	;; [unrolled: 1-line block ×6, first 2 shown]
	v_lshl_add_u32 v105, v88, 4, 0
	s_and_saveexec_b64 s[2:3], vcc
	s_cbranch_execz .LBB0_17
; %bb.16:
	ds_read_b128 v[0:3], v105
	ds_read_b128 v[32:35], v104 offset:25984
.LBB0_17:
	s_or_b64 exec, exec, s[2:3]
	v_and_b32_e32 v78, 1, v84
	v_lshlrev_b32_e32 v83, 4, v78
	global_load_dwordx4 v[106:109], v83, s[4:5]
	s_movk_i32 s2, 0xfc
	s_movk_i32 s3, 0x1fc
	s_waitcnt lgkmcnt(0)
	s_barrier
	s_waitcnt vmcnt(0)
	v_mul_f64 v[102:103], v[38:39], v[108:109]
	v_fmac_f64_e32 v[102:103], v[36:37], v[106:107]
	v_mul_f64 v[36:37], v[36:37], v[108:109]
	v_fma_f64 v[38:39], v[38:39], v[106:107], -v[36:37]
	v_mul_f64 v[36:37], v[44:45], v[108:109]
	v_fma_f64 v[112:113], v[46:47], v[106:107], -v[36:37]
	;; [unrolled: 2-line block ×3, first 2 shown]
	v_mul_f64 v[118:119], v[62:63], v[108:109]
	v_mul_f64 v[36:37], v[60:61], v[108:109]
	v_fmac_f64_e32 v[118:119], v[60:61], v[106:107]
	v_fma_f64 v[60:61], v[62:63], v[106:107], -v[36:37]
	v_mul_f64 v[36:37], v[56:57], v[108:109]
	v_fma_f64 v[120:121], v[58:59], v[106:107], -v[36:37]
	v_mul_f64 v[36:37], v[52:53], v[108:109]
	v_mul_f64 v[130:131], v[34:35], v[108:109]
	;; [unrolled: 1-line block ×3, first 2 shown]
	v_fma_f64 v[124:125], v[54:55], v[106:107], -v[36:37]
	v_mul_f64 v[36:37], v[48:49], v[108:109]
	v_fmac_f64_e32 v[130:131], v[32:33], v[106:107]
	v_mul_f64 v[32:33], v[32:33], v[108:109]
	v_fmac_f64_e32 v[110:111], v[44:45], v[106:107]
	v_mul_f64 v[126:127], v[50:51], v[108:109]
	v_fma_f64 v[128:129], v[50:51], v[106:107], -v[36:37]
	v_fma_f64 v[34:35], v[34:35], v[106:107], -v[32:33]
	v_sub_u32_e32 v37, 0, v70
	v_add_f64 v[44:45], v[4:5], -v[102:103]
	v_add_f64 v[32:33], v[0:1], -v[130:131]
	v_lshlrev_b32_e32 v70, 1, v84
	v_mul_f64 v[114:115], v[42:43], v[108:109]
	v_fmac_f64_e32 v[126:127], v[48:49], v[106:107]
	v_add_f64 v[48:49], v[12:13], -v[110:111]
	v_fma_f64 v[110:111], v[4:5], 2.0, -v[44:45]
	v_fma_f64 v[4:5], v[0:1], 2.0, -v[32:33]
	v_and_or_b32 v0, v70, s2, v78
	v_fmac_f64_e32 v[114:115], v[40:41], v[106:107]
	v_mul_f64 v[122:123], v[54:55], v[108:109]
	v_add_f64 v[46:47], v[6:7], -v[38:39]
	v_add_f64 v[50:51], v[14:15], -v[112:113]
	v_and_or_b32 v1, v68, s3, v78
	v_lshl_add_u32 v0, v0, 4, 0
	s_movk_i32 s2, 0x3fc
	v_fmac_f64_e32 v[122:123], v[52:53], v[106:107]
	v_add_f64 v[52:53], v[8:9], -v[114:115]
	v_add_f64 v[54:55], v[10:11], -v[116:117]
	v_fma_f64 v[112:113], v[6:7], 2.0, -v[46:47]
	v_fma_f64 v[12:13], v[12:13], 2.0, -v[48:49]
	;; [unrolled: 1-line block ×3, first 2 shown]
	v_lshl_add_u32 v1, v1, 4, 0
	ds_write_b128 v0, v[44:47] offset:32
	ds_write_b128 v0, v[110:113]
	ds_write_b128 v1, v[12:15]
	ds_write_b128 v1, v[48:51] offset:32
	v_and_or_b32 v0, v69, s2, v78
	v_mul_f64 v[62:63], v[58:59], v[108:109]
	v_fma_f64 v[8:9], v[8:9], 2.0, -v[52:53]
	v_fma_f64 v[10:11], v[10:11], 2.0, -v[54:55]
	v_lshl_add_u32 v0, v0, 4, 0
	v_fmac_f64_e32 v[62:63], v[56:57], v[106:107]
	v_add_f64 v[56:57], v[20:21], -v[118:119]
	v_add_f64 v[58:59], v[22:23], -v[60:61]
	ds_write_b128 v0, v[8:11]
	ds_write_b128 v0, v[52:55] offset:32
	v_and_or_b32 v0, v67, s2, v78
	v_fma_f64 v[20:21], v[20:21], 2.0, -v[56:57]
	v_fma_f64 v[22:23], v[22:23], 2.0, -v[58:59]
	v_lshl_add_u32 v0, v0, 4, 0
	s_movk_i32 s2, 0x7fc
	v_add_f64 v[60:61], v[16:17], -v[62:63]
	v_add_f64 v[62:63], v[18:19], -v[120:121]
	ds_write_b128 v0, v[20:23]
	ds_write_b128 v0, v[56:59] offset:32
	v_and_or_b32 v0, v66, s2, v78
	v_fma_f64 v[16:17], v[16:17], 2.0, -v[60:61]
	v_fma_f64 v[18:19], v[18:19], 2.0, -v[62:63]
	v_lshl_add_u32 v0, v0, 4, 0
	s_movk_i32 s3, 0x5fc
	v_sub_u32_e32 v42, 0, v80
	v_sub_u32_e32 v41, 0, v81
	;; [unrolled: 1-line block ×3, first 2 shown]
	v_add_f64 v[80:81], v[28:29], -v[122:123]
	v_add_f64 v[82:83], v[30:31], -v[124:125]
	ds_write_b128 v0, v[16:19]
	ds_write_b128 v0, v[60:63] offset:32
	v_and_or_b32 v0, v65, s3, v78
	v_fma_f64 v[28:29], v[28:29], 2.0, -v[80:81]
	v_fma_f64 v[30:31], v[30:31], 2.0, -v[82:83]
	v_lshl_add_u32 v0, v0, 4, 0
	v_add_f64 v[106:107], v[24:25], -v[126:127]
	v_add_f64 v[108:109], v[26:27], -v[128:129]
	;; [unrolled: 1-line block ×3, first 2 shown]
	ds_write_b128 v0, v[28:31]
	ds_write_b128 v0, v[80:83] offset:32
	v_and_or_b32 v0, v64, s2, v78
	v_sub_u32_e32 v36, 0, v71
	v_sub_u32_e32 v43, 0, v79
	v_fma_f64 v[24:25], v[24:25], 2.0, -v[106:107]
	v_fma_f64 v[26:27], v[26:27], 2.0, -v[108:109]
	;; [unrolled: 1-line block ×3, first 2 shown]
	v_lshl_add_u32 v0, v0, 4, 0
	v_lshlrev_b32_e32 v71, 1, v88
	ds_write_b128 v0, v[24:27]
	ds_write_b128 v0, v[106:109] offset:32
	s_and_saveexec_b64 s[2:3], vcc
	s_cbranch_execz .LBB0_19
; %bb.18:
	s_movk_i32 s6, 0x6fc
	v_and_or_b32 v0, v71, s6, v78
	v_lshl_add_u32 v0, v0, 4, 0
	ds_write_b128 v0, v[4:7]
	ds_write_b128 v0, v[32:35] offset:32
.LBB0_19:
	s_or_b64 exec, exec, s[2:3]
	v_add_u32_e32 v95, v72, v37
	v_add_u32_e32 v108, v74, v43
	;; [unrolled: 1-line block ×3, first 2 shown]
	s_waitcnt lgkmcnt(0)
	s_barrier
	ds_read_b128 v[16:19], v104
	ds_read_b128 v[28:31], v104 offset:13440
	v_add_u32_e32 v93, v73, v36
	ds_read_b128 v[20:23], v95
	ds_read_b128 v[0:3], v93
	ds_read_b128 v[52:55], v104 offset:15232
	ds_read_b128 v[36:39], v104 offset:17024
	v_add_u32_e32 v107, v75, v42
	ds_read_b128 v[24:27], v108
	ds_read_b128 v[8:11], v107
	ds_read_b128 v[56:59], v104 offset:18816
	;; [unrolled: 5-line block ×3, first 2 shown]
	ds_read_b128 v[48:51], v104 offset:24192
	s_and_saveexec_b64 s[2:3], vcc
	s_cbranch_execz .LBB0_21
; %bb.20:
	ds_read_b128 v[4:7], v105
	ds_read_b128 v[32:35], v104 offset:25984
.LBB0_21:
	s_or_b64 exec, exec, s[2:3]
	v_and_b32_e32 v72, 3, v84
	v_lshlrev_b32_e32 v73, 4, v72
	global_load_dwordx4 v[74:77], v73, s[4:5] offset:32
	s_movk_i32 s2, 0xf8
	s_waitcnt lgkmcnt(0)
	s_barrier
	s_movk_i32 s3, 0x5f8
	s_waitcnt vmcnt(0)
	v_mul_f64 v[78:79], v[30:31], v[76:77]
	v_mul_f64 v[102:103], v[46:47], v[76:77]
	v_fmac_f64_e32 v[78:79], v[28:29], v[74:75]
	v_mul_f64 v[28:29], v[28:29], v[76:77]
	v_fmac_f64_e32 v[102:103], v[44:45], v[74:75]
	v_mul_f64 v[44:45], v[44:45], v[76:77]
	v_fma_f64 v[28:29], v[30:31], v[74:75], -v[28:29]
	v_mul_f64 v[30:31], v[54:55], v[76:77]
	v_fma_f64 v[110:111], v[46:47], v[74:75], -v[44:45]
	v_mul_f64 v[44:45], v[60:61], v[76:77]
	v_fmac_f64_e32 v[30:31], v[52:53], v[74:75]
	v_mul_f64 v[52:53], v[52:53], v[76:77]
	v_mul_f64 v[80:81], v[38:39], v[76:77]
	;; [unrolled: 1-line block ×3, first 2 shown]
	v_fma_f64 v[114:115], v[62:63], v[74:75], -v[44:45]
	v_mul_f64 v[44:45], v[48:49], v[76:77]
	v_fma_f64 v[54:55], v[54:55], v[74:75], -v[52:53]
	v_fmac_f64_e32 v[80:81], v[36:37], v[74:75]
	v_mul_f64 v[36:37], v[36:37], v[76:77]
	v_mul_f64 v[52:53], v[56:57], v[76:77]
	v_fmac_f64_e32 v[112:113], v[60:61], v[74:75]
	v_mul_f64 v[116:117], v[50:51], v[76:77]
	v_fma_f64 v[118:119], v[50:51], v[74:75], -v[44:45]
	v_add_f64 v[44:45], v[16:17], -v[78:79]
	v_fma_f64 v[36:37], v[38:39], v[74:75], -v[36:37]
	v_mul_f64 v[38:39], v[58:59], v[76:77]
	v_fma_f64 v[82:83], v[58:59], v[74:75], -v[52:53]
	v_fmac_f64_e32 v[116:117], v[48:49], v[74:75]
	v_fma_f64 v[48:49], v[16:17], 2.0, -v[44:45]
	v_add_f64 v[52:53], v[20:21], -v[30:31]
	v_add_f64 v[16:17], v[40:41], -v[112:113]
	v_fmac_f64_e32 v[38:39], v[56:57], v[74:75]
	v_add_f64 v[46:47], v[18:19], -v[28:29]
	v_fma_f64 v[56:57], v[20:21], 2.0, -v[52:53]
	v_fma_f64 v[20:21], v[40:41], 2.0, -v[16:17]
	v_and_or_b32 v40, v70, s2, v72
	v_fma_f64 v[50:51], v[18:19], 2.0, -v[46:47]
	v_lshl_add_u32 v40, v40, 4, 0
	s_movk_i32 s2, 0x1f8
	v_add_f64 v[54:55], v[22:23], -v[54:55]
	ds_write_b128 v40, v[48:51]
	ds_write_b128 v40, v[44:47] offset:64
	v_and_or_b32 v40, v68, s2, v72
	v_mul_f64 v[120:121], v[34:35], v[76:77]
	v_fma_f64 v[58:59], v[22:23], 2.0, -v[54:55]
	v_lshl_add_u32 v40, v40, 4, 0
	s_movk_i32 s2, 0x3f8
	v_fmac_f64_e32 v[120:121], v[32:33], v[74:75]
	v_mul_f64 v[32:33], v[32:33], v[76:77]
	v_add_f64 v[60:61], v[0:1], -v[80:81]
	v_add_f64 v[62:63], v[2:3], -v[36:37]
	ds_write_b128 v40, v[56:59]
	ds_write_b128 v40, v[52:55] offset:64
	v_and_or_b32 v40, v69, s2, v72
	v_fma_f64 v[122:123], v[34:35], v[74:75], -v[32:33]
	v_fma_f64 v[74:75], v[0:1], 2.0, -v[60:61]
	v_fma_f64 v[76:77], v[2:3], 2.0, -v[62:63]
	v_lshl_add_u32 v40, v40, 4, 0
	v_add_f64 v[32:33], v[24:25], -v[38:39]
	v_add_f64 v[34:35], v[26:27], -v[82:83]
	ds_write_b128 v40, v[74:77]
	ds_write_b128 v40, v[60:63] offset:64
	v_and_or_b32 v40, v67, s2, v72
	v_fma_f64 v[36:37], v[24:25], 2.0, -v[32:33]
	v_fma_f64 v[38:39], v[26:27], 2.0, -v[34:35]
	v_lshl_add_u32 v40, v40, 4, 0
	s_movk_i32 s2, 0x7f8
	v_add_f64 v[24:25], v[8:9], -v[102:103]
	v_add_f64 v[26:27], v[10:11], -v[110:111]
	ds_write_b128 v40, v[36:39]
	ds_write_b128 v40, v[32:35] offset:64
	v_and_or_b32 v32, v66, s2, v72
	v_fma_f64 v[28:29], v[8:9], 2.0, -v[24:25]
	v_fma_f64 v[30:31], v[10:11], 2.0, -v[26:27]
	v_lshl_add_u32 v32, v32, 4, 0
	v_add_f64 v[18:19], v[42:43], -v[114:115]
	ds_write_b128 v32, v[28:31]
	ds_write_b128 v32, v[24:27] offset:64
	v_and_or_b32 v24, v65, s3, v72
	v_fma_f64 v[22:23], v[42:43], 2.0, -v[18:19]
	v_lshl_add_u32 v24, v24, 4, 0
	v_add_f64 v[8:9], v[12:13], -v[116:117]
	v_add_f64 v[10:11], v[14:15], -v[118:119]
	;; [unrolled: 1-line block ×4, first 2 shown]
	ds_write_b128 v24, v[20:23]
	ds_write_b128 v24, v[16:19] offset:64
	v_and_or_b32 v16, v64, s2, v72
	v_fma_f64 v[12:13], v[12:13], 2.0, -v[8:9]
	v_fma_f64 v[14:15], v[14:15], 2.0, -v[10:11]
	;; [unrolled: 1-line block ×4, first 2 shown]
	v_lshl_add_u32 v16, v16, 4, 0
	ds_write_b128 v16, v[12:15]
	ds_write_b128 v16, v[8:11] offset:64
	s_and_saveexec_b64 s[2:3], vcc
	s_cbranch_execz .LBB0_23
; %bb.22:
	s_movk_i32 s6, 0x6f8
	v_and_or_b32 v8, v71, s6, v72
	v_lshl_add_u32 v8, v8, 4, 0
	ds_write_b128 v8, v[4:7]
	ds_write_b128 v8, v[0:3] offset:64
.LBB0_23:
	s_or_b64 exec, exec, s[2:3]
	s_waitcnt lgkmcnt(0)
	s_barrier
	ds_read_b128 v[8:11], v104
	ds_read_b128 v[36:39], v104 offset:13440
	ds_read_b128 v[12:15], v95
	ds_read_b128 v[16:19], v93
	ds_read_b128 v[44:47], v104 offset:15232
	ds_read_b128 v[40:43], v104 offset:17024
	ds_read_b128 v[20:23], v108
	ds_read_b128 v[24:27], v107
	ds_read_b128 v[52:55], v104 offset:18816
	;; [unrolled: 4-line block ×3, first 2 shown]
	ds_read_b128 v[56:59], v104 offset:24192
	s_and_saveexec_b64 s[2:3], vcc
	s_cbranch_execz .LBB0_25
; %bb.24:
	ds_read_b128 v[4:7], v105
	ds_read_b128 v[0:3], v104 offset:25984
.LBB0_25:
	s_or_b64 exec, exec, s[2:3]
	v_and_b32_e32 v72, 7, v84
	v_lshlrev_b32_e32 v73, 4, v72
	global_load_dwordx4 v[74:77], v73, s[4:5] offset:96
	s_movk_i32 s3, 0x1f0
	s_movk_i32 s6, 0x3f0
	v_and_or_b32 v68, v68, s3, v72
	v_and_or_b32 v69, v69, s6, v72
	v_lshl_add_u32 v73, v68, 4, 0
	v_lshl_add_u32 v91, v69, 4, 0
	s_movk_i32 s2, 0xf0
	v_and_or_b32 v70, v70, s2, v72
	v_and_or_b32 v67, v67, s6, v72
	v_lshl_add_u32 v70, v70, 4, 0
	s_movk_i32 s2, 0x7f0
	s_waitcnt lgkmcnt(0)
	s_barrier
	v_lshl_add_u32 v67, v67, 4, 0
	s_movk_i32 s3, 0x5f0
	s_waitcnt vmcnt(0)
	v_mul_f64 v[68:69], v[38:39], v[76:77]
	v_mul_f64 v[78:79], v[36:37], v[76:77]
	;; [unrolled: 1-line block ×8, first 2 shown]
	v_fmac_f64_e32 v[68:69], v[36:37], v[74:75]
	v_mul_f64 v[116:117], v[50:51], v[76:77]
	v_mul_f64 v[118:119], v[48:49], v[76:77]
	v_fma_f64 v[38:39], v[38:39], v[74:75], -v[78:79]
	v_fmac_f64_e32 v[80:81], v[44:45], v[74:75]
	v_fma_f64 v[44:45], v[46:47], v[74:75], -v[82:83]
	v_fmac_f64_e32 v[102:103], v[40:41], v[74:75]
	;; [unrolled: 2-line block ×3, first 2 shown]
	v_fma_f64 v[52:53], v[54:55], v[74:75], -v[114:115]
	v_add_f64 v[36:37], v[8:9], -v[68:69]
	v_fmac_f64_e32 v[116:117], v[48:49], v[74:75]
	v_fma_f64 v[54:55], v[50:51], v[74:75], -v[118:119]
	v_add_f64 v[38:39], v[10:11], -v[38:39]
	v_add_f64 v[40:41], v[12:13], -v[80:81]
	;; [unrolled: 1-line block ×7, first 2 shown]
	v_fma_f64 v[8:9], v[8:9], 2.0, -v[36:37]
	v_mul_f64 v[120:121], v[62:63], v[76:77]
	v_mul_f64 v[122:123], v[60:61], v[76:77]
	v_add_f64 v[52:53], v[24:25], -v[116:117]
	v_add_f64 v[54:55], v[26:27], -v[54:55]
	v_fma_f64 v[10:11], v[10:11], 2.0, -v[38:39]
	v_fma_f64 v[12:13], v[12:13], 2.0, -v[40:41]
	;; [unrolled: 1-line block ×7, first 2 shown]
	ds_write_b128 v70, v[36:39] offset:128
	ds_write_b128 v70, v[8:11]
	ds_write_b128 v73, v[12:15]
	ds_write_b128 v73, v[40:43] offset:128
	ds_write_b128 v91, v[16:19]
	ds_write_b128 v91, v[44:47] offset:128
	;; [unrolled: 2-line block ×3, first 2 shown]
	v_and_or_b32 v8, v66, s2, v72
	v_mul_f64 v[124:125], v[58:59], v[76:77]
	v_mul_f64 v[126:127], v[56:57], v[76:77]
	v_fmac_f64_e32 v[120:121], v[60:61], v[74:75]
	v_fma_f64 v[60:61], v[62:63], v[74:75], -v[122:123]
	v_fma_f64 v[24:25], v[24:25], 2.0, -v[52:53]
	v_fma_f64 v[26:27], v[26:27], 2.0, -v[54:55]
	v_lshl_add_u32 v8, v8, 4, 0
	v_fmac_f64_e32 v[124:125], v[56:57], v[74:75]
	v_fma_f64 v[62:63], v[58:59], v[74:75], -v[126:127]
	v_add_f64 v[56:57], v[28:29], -v[120:121]
	v_add_f64 v[58:59], v[30:31], -v[60:61]
	ds_write_b128 v8, v[24:27]
	ds_write_b128 v8, v[52:55] offset:128
	v_and_or_b32 v8, v65, s3, v72
	v_mul_f64 v[128:129], v[2:3], v[76:77]
	v_mul_f64 v[76:77], v[0:1], v[76:77]
	v_fma_f64 v[28:29], v[28:29], 2.0, -v[56:57]
	v_fma_f64 v[30:31], v[30:31], 2.0, -v[58:59]
	v_lshl_add_u32 v8, v8, 4, 0
	v_fmac_f64_e32 v[128:129], v[0:1], v[74:75]
	v_fma_f64 v[2:3], v[2:3], v[74:75], -v[76:77]
	v_add_f64 v[60:61], v[32:33], -v[124:125]
	v_add_f64 v[62:63], v[34:35], -v[62:63]
	ds_write_b128 v8, v[28:31]
	ds_write_b128 v8, v[56:59] offset:128
	v_and_or_b32 v8, v64, s2, v72
	v_add_f64 v[0:1], v[4:5], -v[128:129]
	v_add_f64 v[2:3], v[6:7], -v[2:3]
	v_fma_f64 v[32:33], v[32:33], 2.0, -v[60:61]
	v_fma_f64 v[34:35], v[34:35], 2.0, -v[62:63]
	v_lshl_add_u32 v8, v8, 4, 0
	ds_write_b128 v8, v[32:35]
	ds_write_b128 v8, v[60:63] offset:128
	s_and_saveexec_b64 s[2:3], vcc
	s_cbranch_execz .LBB0_27
; %bb.26:
	s_movk_i32 s6, 0x6f0
	v_and_or_b32 v8, v71, s6, v72
	v_lshl_add_u32 v8, v8, 4, 0
	v_fma_f64 v[6:7], v[6:7], 2.0, -v[2:3]
	v_fma_f64 v[4:5], v[4:5], 2.0, -v[0:1]
	ds_write_b128 v8, v[4:7]
	ds_write_b128 v8, v[0:3] offset:128
.LBB0_27:
	s_or_b64 exec, exec, s[2:3]
	v_and_b32_e32 v91, 15, v84
	v_lshlrev_b32_e32 v4, 5, v91
	s_waitcnt lgkmcnt(0)
	s_barrier
	global_load_dwordx4 v[24:27], v4, s[4:5] offset:224
	global_load_dwordx4 v[28:31], v4, s[4:5] offset:240
	ds_read_b128 v[32:35], v106
	ds_read_b128 v[20:23], v104
	ds_read_b128 v[36:39], v104 offset:10752
	ds_read_b128 v[16:19], v95
	ds_read_b128 v[12:15], v93
	ds_read_b128 v[40:43], v104 offset:19712
	ds_read_b128 v[44:47], v104 offset:21504
	;; [unrolled: 1-line block ×4, first 2 shown]
	ds_read_b128 v[8:11], v108
	ds_read_b128 v[4:7], v107
	ds_read_b128 v[56:59], v104 offset:17920
	ds_read_b128 v[60:63], v104 offset:16128
	;; [unrolled: 1-line block ×4, first 2 shown]
	s_mov_b32 s2, 0xe8584caa
	s_mov_b32 s3, 0xbfebb67a
	;; [unrolled: 1-line block ×4, first 2 shown]
	s_waitcnt lgkmcnt(0)
	s_barrier
	s_waitcnt vmcnt(1)
	v_mul_f64 v[72:73], v[34:35], v[26:27]
	s_waitcnt vmcnt(0)
	v_mul_f64 v[76:77], v[58:59], v[30:31]
	v_mul_f64 v[74:75], v[32:33], v[26:27]
	;; [unrolled: 1-line block ×11, first 2 shown]
	v_fmac_f64_e32 v[72:73], v[32:33], v[24:25]
	v_fmac_f64_e32 v[76:77], v[56:57], v[28:29]
	v_mul_f64 v[102:103], v[42:43], v[30:31]
	v_mul_f64 v[110:111], v[40:41], v[30:31]
	;; [unrolled: 1-line block ×7, first 2 shown]
	v_fma_f64 v[32:33], v[34:35], v[24:25], -v[74:75]
	v_mul_f64 v[30:31], v[68:69], v[30:31]
	v_fma_f64 v[34:35], v[58:59], v[28:29], -v[78:79]
	v_fma_f64 v[62:63], v[62:63], v[24:25], -v[26:27]
	v_add_f64 v[26:27], v[72:73], v[76:77]
	v_fmac_f64_e32 v[80:81], v[36:37], v[24:25]
	v_fma_f64 v[38:39], v[38:39], v[24:25], -v[82:83]
	v_fmac_f64_e32 v[102:103], v[40:41], v[28:29]
	v_fma_f64 v[40:41], v[42:43], v[28:29], -v[110:111]
	v_fmac_f64_e32 v[112:113], v[48:49], v[24:25]
	v_fma_f64 v[48:49], v[50:51], v[24:25], -v[114:115]
	v_fmac_f64_e32 v[116:117], v[44:45], v[28:29]
	v_fma_f64 v[46:47], v[46:47], v[28:29], -v[118:119]
	v_fmac_f64_e32 v[120:121], v[52:53], v[24:25]
	v_fma_f64 v[54:55], v[54:55], v[24:25], -v[122:123]
	v_fmac_f64_e32 v[124:125], v[64:65], v[28:29]
	v_fma_f64 v[56:57], v[66:67], v[28:29], -v[126:127]
	v_fmac_f64_e32 v[128:129], v[60:61], v[24:25]
	v_fmac_f64_e32 v[130:131], v[68:69], v[28:29]
	v_fma_f64 v[64:65], v[70:71], v[28:29], -v[30:31]
	v_add_f64 v[24:25], v[20:21], v[72:73]
	v_add_f64 v[30:31], v[32:33], -v[34:35]
	v_add_f64 v[28:29], v[22:23], v[32:33]
	v_add_f64 v[32:33], v[32:33], v[34:35]
	v_fmac_f64_e32 v[20:21], -0.5, v[26:27]
	v_add_f64 v[42:43], v[16:17], v[80:81]
	v_add_f64 v[50:51], v[38:39], -v[40:41]
	v_fmac_f64_e32 v[22:23], -0.5, v[32:33]
	v_fma_f64 v[32:33], s[2:3], v[30:31], v[20:21]
	v_fmac_f64_e32 v[20:21], s[6:7], v[30:31]
	v_add_f64 v[30:31], v[18:19], v[38:39]
	v_add_f64 v[38:39], v[38:39], v[40:41]
	;; [unrolled: 1-line block ×5, first 2 shown]
	v_fmac_f64_e32 v[18:19], -0.5, v[38:39]
	v_add_f64 v[40:41], v[80:81], -v[102:103]
	v_add_f64 v[42:43], v[112:113], v[116:117]
	v_add_f64 v[44:45], v[80:81], v[102:103]
	v_fma_f64 v[38:39], s[6:7], v[40:41], v[18:19]
	v_fmac_f64_e32 v[18:19], s[2:3], v[40:41]
	v_add_f64 v[40:41], v[12:13], v[112:113]
	v_fmac_f64_e32 v[12:13], -0.5, v[42:43]
	v_add_f64 v[42:43], v[48:49], -v[46:47]
	v_fmac_f64_e32 v[16:17], -0.5, v[44:45]
	v_fma_f64 v[44:45], s[2:3], v[42:43], v[12:13]
	v_fmac_f64_e32 v[12:13], s[6:7], v[42:43]
	v_add_f64 v[42:43], v[14:15], v[48:49]
	v_add_f64 v[36:37], v[72:73], -v[76:77]
	v_add_f64 v[42:43], v[42:43], v[46:47]
	v_add_f64 v[46:47], v[48:49], v[46:47]
	v_fma_f64 v[34:35], s[6:7], v[36:37], v[22:23]
	v_fmac_f64_e32 v[22:23], s[2:3], v[36:37]
	v_fma_f64 v[36:37], s[2:3], v[50:51], v[16:17]
	v_fmac_f64_e32 v[16:17], s[6:7], v[50:51]
	v_fmac_f64_e32 v[14:15], -0.5, v[46:47]
	v_add_f64 v[48:49], v[112:113], -v[116:117]
	v_add_f64 v[50:51], v[120:121], v[124:125]
	v_fma_f64 v[46:47], s[6:7], v[48:49], v[14:15]
	v_fmac_f64_e32 v[14:15], s[2:3], v[48:49]
	v_add_f64 v[48:49], v[8:9], v[120:121]
	v_fmac_f64_e32 v[8:9], -0.5, v[50:51]
	v_add_f64 v[50:51], v[54:55], -v[56:57]
	v_fma_f64 v[52:53], s[2:3], v[50:51], v[8:9]
	v_fmac_f64_e32 v[8:9], s[6:7], v[50:51]
	v_add_f64 v[50:51], v[10:11], v[54:55]
	v_add_f64 v[54:55], v[54:55], v[56:57]
	;; [unrolled: 1-line block ×3, first 2 shown]
	v_fmac_f64_e32 v[10:11], -0.5, v[54:55]
	v_add_f64 v[56:57], v[120:121], -v[124:125]
	v_add_f64 v[58:59], v[128:129], v[130:131]
	v_fma_f64 v[54:55], s[6:7], v[56:57], v[10:11]
	v_fmac_f64_e32 v[10:11], s[2:3], v[56:57]
	v_add_f64 v[56:57], v[4:5], v[128:129]
	v_fmac_f64_e32 v[4:5], -0.5, v[58:59]
	v_add_f64 v[58:59], v[62:63], -v[64:65]
	v_fma_f64 v[60:61], s[2:3], v[58:59], v[4:5]
	v_fmac_f64_e32 v[4:5], s[6:7], v[58:59]
	v_add_f64 v[58:59], v[6:7], v[62:63]
	v_add_f64 v[62:63], v[62:63], v[64:65]
	;; [unrolled: 1-line block ×3, first 2 shown]
	v_fmac_f64_e32 v[6:7], -0.5, v[62:63]
	v_add_f64 v[64:65], v[128:129], -v[130:131]
	v_fma_f64 v[62:63], s[6:7], v[64:65], v[6:7]
	v_fmac_f64_e32 v[6:7], s[2:3], v[64:65]
	v_lshrrev_b32_e32 v64, 4, v84
	v_mul_u32_u24_e32 v64, 48, v64
	v_or_b32_e32 v64, v64, v91
	v_add_f64 v[24:25], v[24:25], v[76:77]
	v_lshl_add_u32 v64, v64, 4, 0
	ds_write_b128 v64, v[24:27]
	ds_write_b128 v64, v[32:35] offset:256
	ds_write_b128 v64, v[20:23] offset:512
	v_lshrrev_b32_e32 v20, 4, v90
	v_mul_lo_u32 v20, v20, 48
	v_or_b32_e32 v20, v20, v91
	v_lshl_add_u32 v20, v20, 4, 0
	ds_write_b128 v20, v[28:31]
	ds_write_b128 v20, v[36:39] offset:256
	ds_write_b128 v20, v[16:19] offset:512
	v_lshrrev_b32_e32 v16, 4, v100
	v_mul_lo_u32 v16, v16, 48
	v_or_b32_e32 v16, v16, v91
	v_add_f64 v[40:41], v[40:41], v[116:117]
	v_lshl_add_u32 v16, v16, 4, 0
	ds_write_b128 v16, v[40:43]
	ds_write_b128 v16, v[44:47] offset:256
	ds_write_b128 v16, v[12:15] offset:512
	v_lshrrev_b32_e32 v12, 4, v98
	v_mul_lo_u32 v12, v12, 48
	v_or_b32_e32 v12, v12, v91
	v_add_f64 v[48:49], v[48:49], v[124:125]
	;; [unrolled: 8-line block ×3, first 2 shown]
	v_lshl_add_u32 v8, v8, 4, 0
	ds_write_b128 v8, v[56:59]
	ds_write_b128 v8, v[60:63] offset:256
	ds_write_b128 v8, v[4:7] offset:512
	s_waitcnt lgkmcnt(0)
	s_barrier
	ds_read_b128 v[32:35], v104
	ds_read_b128 v[76:79], v104 offset:3840
	ds_read_b128 v[68:71], v104 offset:7680
	;; [unrolled: 1-line block ×11, first 2 shown]
	ds_read_b128 v[28:31], v95
	ds_read_b128 v[36:39], v104 offset:24832
	v_cmp_gt_u32_e64 s[2:3], 16, v84
                                        ; implicit-def: $vgpr26_vgpr27
                                        ; implicit-def: $vgpr22_vgpr23
                                        ; implicit-def: $vgpr18_vgpr19
                                        ; implicit-def: $vgpr14_vgpr15
                                        ; implicit-def: $vgpr10_vgpr11
	s_and_saveexec_b64 s[6:7], s[2:3]
	s_cbranch_execz .LBB0_29
; %bb.28:
	ds_read_b128 v[4:7], v93
	ds_read_b128 v[0:3], v104 offset:7424
	ds_read_b128 v[8:11], v104 offset:11264
	;; [unrolled: 1-line block ×6, first 2 shown]
.LBB0_29:
	s_or_b64 exec, exec, s[6:7]
	s_movk_i32 s6, 0xab
	v_mul_lo_u16_sdwa v91, v84, s6 dst_sel:DWORD dst_unused:UNUSED_PAD src0_sel:BYTE_0 src1_sel:DWORD
	v_lshrrev_b16_e32 v91, 13, v91
	v_mul_lo_u16_e32 v97, 48, v91
	v_sub_u16_e32 v97, v84, v97
	v_mov_b32_e32 v109, 6
	v_mul_u32_u24_sdwa v99, v97, v109 dst_sel:DWORD dst_unused:UNUSED_PAD src0_sel:BYTE_0 src1_sel:DWORD
	v_lshlrev_b32_e32 v99, 4, v99
	global_load_dwordx4 v[110:113], v99, s[4:5] offset:784
	global_load_dwordx4 v[114:117], v99, s[4:5] offset:768
	;; [unrolled: 1-line block ×4, first 2 shown]
	s_mov_b32 s10, 0x37e14327
	s_mov_b32 s12, 0x36b3c0b5
	;; [unrolled: 1-line block ×18, first 2 shown]
	s_waitcnt vmcnt(0) lgkmcnt(12)
	v_mul_f64 v[102:103], v[78:79], v[124:125]
	v_fmac_f64_e32 v[102:103], v[76:77], v[122:123]
	v_mul_f64 v[76:77], v[76:77], v[124:125]
	v_fma_f64 v[78:79], v[78:79], v[122:123], -v[76:77]
	s_waitcnt lgkmcnt(11)
	v_mul_f64 v[76:77], v[70:71], v[120:121]
	v_fmac_f64_e32 v[76:77], v[68:69], v[118:119]
	v_mul_f64 v[68:69], v[68:69], v[120:121]
	v_fma_f64 v[70:71], v[70:71], v[118:119], -v[68:69]
	s_waitcnt lgkmcnt(9)
	;; [unrolled: 5-line block ×3, first 2 shown]
	v_mul_f64 v[82:83], v[74:75], v[112:113]
	v_fmac_f64_e32 v[82:83], v[72:73], v[110:111]
	v_mul_f64 v[72:73], v[72:73], v[112:113]
	v_fma_f64 v[72:73], v[74:75], v[110:111], -v[72:73]
	global_load_dwordx4 v[110:113], v99, s[4:5] offset:816
	global_load_dwordx4 v[114:117], v99, s[4:5] offset:800
	s_waitcnt vmcnt(0) lgkmcnt(5)
	v_mul_f64 v[74:75], v[66:67], v[116:117]
	v_fmac_f64_e32 v[74:75], v[64:65], v[114:115]
	v_mul_f64 v[64:65], v[64:65], v[116:117]
	v_fma_f64 v[64:65], v[66:67], v[114:115], -v[64:65]
	s_waitcnt lgkmcnt(3)
	v_mul_f64 v[66:67], v[62:63], v[112:113]
	v_fmac_f64_e32 v[66:67], v[60:61], v[110:111]
	v_mul_f64 v[60:61], v[60:61], v[112:113]
	v_fma_f64 v[62:63], v[62:63], v[110:111], -v[60:61]
	v_mul_lo_u16_sdwa v60, v90, s6 dst_sel:DWORD dst_unused:UNUSED_PAD src0_sel:BYTE_0 src1_sel:DWORD
	v_lshrrev_b16_e32 v99, 13, v60
	v_mul_lo_u16_e32 v60, 48, v99
	v_sub_u16_e32 v101, v90, v60
	v_mul_u32_u24_sdwa v60, v101, v109 dst_sel:DWORD dst_unused:UNUSED_PAD src0_sel:BYTE_0 src1_sel:DWORD
	v_lshlrev_b32_e32 v109, 4, v60
	global_load_dwordx4 v[110:113], v109, s[4:5] offset:784
	global_load_dwordx4 v[114:117], v109, s[4:5] offset:768
	;; [unrolled: 1-line block ×4, first 2 shown]
	s_mov_b32 s6, 0x429ad128
	s_mov_b32 s7, 0xbfebfeb5
	s_waitcnt vmcnt(0)
	v_mul_f64 v[60:61], v[58:59], v[124:125]
	v_fmac_f64_e32 v[60:61], v[56:57], v[122:123]
	v_mul_f64 v[56:57], v[56:57], v[124:125]
	v_fma_f64 v[58:59], v[58:59], v[122:123], -v[56:57]
	v_mul_f64 v[56:57], v[54:55], v[120:121]
	v_fmac_f64_e32 v[56:57], v[52:53], v[118:119]
	v_mul_f64 v[52:53], v[52:53], v[120:121]
	v_fma_f64 v[54:55], v[54:55], v[118:119], -v[52:53]
	;; [unrolled: 4-line block ×4, first 2 shown]
	global_load_dwordx4 v[110:113], v109, s[4:5] offset:816
	global_load_dwordx4 v[114:117], v109, s[4:5] offset:800
	s_waitcnt lgkmcnt(0)
	s_barrier
	s_waitcnt vmcnt(0)
	v_mul_f64 v[46:47], v[42:43], v[116:117]
	v_fmac_f64_e32 v[46:47], v[40:41], v[114:115]
	v_mul_f64 v[40:41], v[40:41], v[116:117]
	v_mul_f64 v[116:117], v[38:39], v[112:113]
	v_fmac_f64_e32 v[116:117], v[36:37], v[110:111]
	v_mul_f64 v[36:37], v[36:37], v[112:113]
	v_fma_f64 v[114:115], v[42:43], v[114:115], -v[40:41]
	v_fma_f64 v[110:111], v[38:39], v[110:111], -v[36:37]
	v_add_f64 v[36:37], v[102:103], v[66:67]
	v_add_f64 v[38:39], v[78:79], v[62:63]
	v_add_f64 v[42:43], v[78:79], -v[62:63]
	v_add_f64 v[62:63], v[76:77], v[74:75]
	v_add_f64 v[40:41], v[102:103], -v[66:67]
	;; [unrolled: 2-line block ×3, first 2 shown]
	v_add_f64 v[70:71], v[68:69], v[82:83]
	v_add_f64 v[78:79], v[62:63], v[36:37]
	v_add_f64 v[74:75], v[76:77], -v[74:75]
	v_add_f64 v[76:77], v[80:81], v[72:73]
	v_add_f64 v[68:69], v[82:83], -v[68:69]
	v_add_f64 v[72:73], v[72:73], -v[80:81]
	v_add_f64 v[80:81], v[66:67], v[38:39]
	v_add_f64 v[82:83], v[62:63], -v[36:37]
	v_add_f64 v[36:37], v[36:37], -v[70:71]
	;; [unrolled: 1-line block ×3, first 2 shown]
	v_add_f64 v[70:71], v[70:71], v[78:79]
	v_add_f64 v[102:103], v[66:67], -v[38:39]
	v_add_f64 v[38:39], v[38:39], -v[76:77]
	;; [unrolled: 1-line block ×3, first 2 shown]
	v_add_f64 v[76:77], v[76:77], v[80:81]
	v_add_f64 v[32:33], v[32:33], v[70:71]
	;; [unrolled: 1-line block ×4, first 2 shown]
	v_add_f64 v[120:121], v[68:69], -v[74:75]
	v_add_f64 v[122:123], v[72:73], -v[64:65]
	v_add_f64 v[74:75], v[74:75], -v[40:41]
	v_add_f64 v[64:65], v[64:65], -v[42:43]
	v_add_f64 v[34:35], v[34:35], v[76:77]
	v_mov_b64_e32 v[124:125], v[32:33]
	v_add_f64 v[68:69], v[40:41], -v[68:69]
	v_add_f64 v[72:73], v[42:43], -v[72:73]
	v_add_f64 v[40:41], v[112:113], v[40:41]
	v_add_f64 v[42:43], v[118:119], v[42:43]
	v_mul_f64 v[36:37], v[36:37], s[10:11]
	v_mul_f64 v[38:39], v[38:39], s[10:11]
	;; [unrolled: 1-line block ×8, first 2 shown]
	v_fmac_f64_e32 v[124:125], s[14:15], v[70:71]
	v_mov_b64_e32 v[70:71], v[34:35]
	v_fmac_f64_e32 v[70:71], s[14:15], v[76:77]
	v_fma_f64 v[76:77], v[82:83], s[8:9], -v[78:79]
	v_fma_f64 v[78:79], v[102:103], s[8:9], -v[80:81]
	v_fma_f64 v[80:81], v[82:83], s[20:21], -v[36:37]
	v_fmac_f64_e32 v[36:37], s[12:13], v[62:63]
	v_fma_f64 v[62:63], v[102:103], s[20:21], -v[38:39]
	v_fmac_f64_e32 v[38:39], s[12:13], v[66:67]
	v_fma_f64 v[66:67], v[64:65], s[6:7], -v[118:119]
	;; [unrolled: 2-line block ×3, first 2 shown]
	v_fma_f64 v[72:73], v[72:73], s[22:23], -v[122:123]
	v_fma_f64 v[74:75], v[74:75], s[6:7], -v[112:113]
	v_fmac_f64_e32 v[112:113], s[24:25], v[68:69]
	v_add_f64 v[68:69], v[76:77], v[124:125]
	v_add_f64 v[76:77], v[78:79], v[70:71]
	;; [unrolled: 1-line block ×4, first 2 shown]
	v_fmac_f64_e32 v[82:83], s[18:19], v[40:41]
	v_fmac_f64_e32 v[72:73], s[18:19], v[42:43]
	v_add_f64 v[102:103], v[36:37], v[124:125]
	v_add_f64 v[120:121], v[38:39], v[70:71]
	v_fmac_f64_e32 v[112:113], s[18:19], v[40:41]
	v_fmac_f64_e32 v[118:119], s[18:19], v[42:43]
	;; [unrolled: 1-line block ×4, first 2 shown]
	v_add_f64 v[40:41], v[72:73], v[78:79]
	v_add_f64 v[42:43], v[80:81], -v[82:83]
	v_add_f64 v[70:71], v[78:79], -v[72:73]
	v_add_f64 v[72:73], v[82:83], v[80:81]
	v_add_f64 v[78:79], v[60:61], v[116:117]
	;; [unrolled: 1-line block ×4, first 2 shown]
	v_add_f64 v[62:63], v[68:69], -v[66:67]
	v_add_f64 v[64:65], v[74:75], v[76:77]
	v_add_f64 v[66:67], v[66:67], v[68:69]
	v_add_f64 v[68:69], v[76:77], -v[74:75]
	v_add_f64 v[74:75], v[102:103], -v[118:119]
	v_add_f64 v[80:81], v[58:59], v[110:111]
	v_add_f64 v[58:59], v[58:59], -v[110:111]
	v_add_f64 v[102:103], v[54:55], v[114:115]
	;; [unrolled: 2-line block ×3, first 2 shown]
	v_add_f64 v[110:111], v[48:49], v[44:45]
	v_add_f64 v[44:45], v[44:45], -v[48:49]
	v_add_f64 v[48:49], v[82:83], v[78:79]
	v_add_f64 v[50:51], v[50:51], -v[52:53]
	v_add_f64 v[52:53], v[102:103], v[80:81]
	v_add_f64 v[48:49], v[56:57], v[48:49]
	v_add_f64 v[60:61], v[60:61], -v[116:117]
	v_add_f64 v[54:55], v[54:55], -v[114:115]
	v_add_f64 v[52:53], v[110:111], v[52:53]
	v_add_f64 v[28:29], v[28:29], v[48:49]
	v_add_f64 v[38:39], v[120:121], -v[112:113]
	v_add_f64 v[76:77], v[112:113], v[120:121]
	v_add_f64 v[112:113], v[82:83], -v[78:79]
	v_add_f64 v[114:115], v[102:103], -v[80:81]
	;; [unrolled: 1-line block ×6, first 2 shown]
	v_add_f64 v[116:117], v[50:51], v[46:47]
	v_add_f64 v[118:119], v[44:45], v[54:55]
	v_add_f64 v[120:121], v[50:51], -v[46:47]
	v_add_f64 v[122:123], v[44:45], -v[54:55]
	;; [unrolled: 1-line block ×4, first 2 shown]
	v_add_f64 v[30:31], v[30:31], v[52:53]
	v_mov_b64_e32 v[124:125], v[28:29]
	v_add_f64 v[50:51], v[60:61], -v[50:51]
	v_add_f64 v[44:45], v[58:59], -v[44:45]
	v_add_f64 v[56:57], v[116:117], v[60:61]
	v_add_f64 v[58:59], v[118:119], v[58:59]
	v_mul_f64 v[60:61], v[78:79], s[10:11]
	v_mul_f64 v[78:79], v[80:81], s[10:11]
	;; [unrolled: 1-line block ×8, first 2 shown]
	v_fmac_f64_e32 v[124:125], s[14:15], v[48:49]
	v_mov_b64_e32 v[48:49], v[30:31]
	v_fmac_f64_e32 v[48:49], s[14:15], v[52:53]
	v_fma_f64 v[52:53], v[112:113], s[8:9], -v[80:81]
	v_fma_f64 v[80:81], v[114:115], s[8:9], -v[110:111]
	v_fma_f64 v[110:111], v[112:113], s[20:21], -v[60:61]
	v_fmac_f64_e32 v[60:61], s[12:13], v[82:83]
	v_fma_f64 v[82:83], v[114:115], s[20:21], -v[78:79]
	v_fmac_f64_e32 v[78:79], s[12:13], v[102:103]
	v_fma_f64 v[112:113], v[54:55], s[6:7], -v[118:119]
	;; [unrolled: 2-line block ×3, first 2 shown]
	v_fma_f64 v[120:121], v[44:45], s[22:23], -v[122:123]
	v_fma_f64 v[102:103], v[46:47], s[6:7], -v[116:117]
	v_fmac_f64_e32 v[116:117], s[24:25], v[50:51]
	v_add_f64 v[60:61], v[60:61], v[124:125]
	v_add_f64 v[122:123], v[78:79], v[48:49]
	;; [unrolled: 1-line block ×4, first 2 shown]
	v_fmac_f64_e32 v[118:119], s[18:19], v[58:59]
	v_fmac_f64_e32 v[112:113], s[18:19], v[58:59]
	;; [unrolled: 1-line block ×3, first 2 shown]
	v_add_f64 v[80:81], v[80:81], v[48:49]
	v_add_f64 v[82:83], v[82:83], v[48:49]
	v_fmac_f64_e32 v[116:117], s[18:19], v[56:57]
	v_fmac_f64_e32 v[102:103], s[18:19], v[56:57]
	;; [unrolled: 1-line block ×3, first 2 shown]
	v_add_f64 v[44:45], v[118:119], v[60:61]
	v_add_f64 v[48:49], v[120:121], v[110:111]
	v_add_f64 v[52:53], v[78:79], -v[112:113]
	v_add_f64 v[56:57], v[112:113], v[78:79]
	v_add_f64 v[78:79], v[110:111], -v[120:121]
	v_add_f64 v[110:111], v[60:61], -v[118:119]
	v_mov_b32_e32 v61, 4
	v_add_f64 v[50:51], v[82:83], -v[114:115]
	v_add_f64 v[54:55], v[102:103], v[80:81]
	v_add_f64 v[58:59], v[80:81], -v[102:103]
	v_add_f64 v[80:81], v[114:115], v[82:83]
	v_mul_u32_u24_e32 v60, 0x1500, v91
	v_lshlrev_b32_sdwa v82, v61, v97 dst_sel:DWORD dst_unused:UNUSED_PAD src0_sel:DWORD src1_sel:BYTE_0
	v_add3_u32 v60, 0, v60, v82
	ds_write_b128 v60, v[32:35]
	ds_write_b128 v60, v[36:39] offset:768
	ds_write_b128 v60, v[40:43] offset:1536
	;; [unrolled: 1-line block ×6, first 2 shown]
	v_mul_u32_u24_e32 v32, 0x1500, v99
	v_lshlrev_b32_sdwa v33, v61, v101 dst_sel:DWORD dst_unused:UNUSED_PAD src0_sel:DWORD src1_sel:BYTE_0
	v_add3_u32 v32, 0, v32, v33
	v_add_f64 v[46:47], v[122:123], -v[116:117]
	v_add_f64 v[112:113], v[116:117], v[122:123]
	ds_write_b128 v32, v[28:31]
	ds_write_b128 v32, v[44:47] offset:768
	ds_write_b128 v32, v[48:51] offset:1536
	;; [unrolled: 1-line block ×6, first 2 shown]
	s_and_saveexec_b64 s[26:27], s[2:3]
	s_cbranch_execz .LBB0_31
; %bb.30:
	s_mov_b32 s2, 0xaaab
	v_mul_u32_u24_sdwa v28, v100, s2 dst_sel:DWORD dst_unused:UNUSED_PAD src0_sel:WORD_0 src1_sel:DWORD
	v_lshrrev_b32_e32 v28, 21, v28
	v_mul_lo_u16_e32 v28, 48, v28
	v_sub_u16_e32 v64, v100, v28
	v_mul_u32_u24_e32 v28, 6, v64
	v_lshlrev_b32_e32 v52, 4, v28
	global_load_dwordx4 v[28:31], v52, s[4:5] offset:784
	global_load_dwordx4 v[32:35], v52, s[4:5] offset:768
	;; [unrolled: 1-line block ×6, first 2 shown]
	s_waitcnt vmcnt(5)
	v_mul_f64 v[52:53], v[18:19], v[30:31]
	s_waitcnt vmcnt(4)
	v_mul_f64 v[54:55], v[14:15], v[34:35]
	;; [unrolled: 2-line block ×6, first 2 shown]
	v_mul_f64 v[34:35], v[12:13], v[34:35]
	v_mul_f64 v[38:39], v[8:9], v[38:39]
	;; [unrolled: 1-line block ×6, first 2 shown]
	v_fmac_f64_e32 v[54:55], v[12:13], v[32:33]
	v_fmac_f64_e32 v[56:57], v[8:9], v[36:37]
	;; [unrolled: 1-line block ×5, first 2 shown]
	v_fma_f64 v[0:1], v[14:15], v[32:33], -v[34:35]
	v_fma_f64 v[10:11], v[10:11], v[36:37], -v[38:39]
	;; [unrolled: 1-line block ×5, first 2 shown]
	v_fmac_f64_e32 v[52:53], v[16:17], v[28:29]
	v_fma_f64 v[8:9], v[18:19], v[28:29], -v[30:31]
	v_add_f64 v[24:25], v[10:11], v[12:13]
	v_add_f64 v[26:27], v[2:3], v[14:15]
	;; [unrolled: 1-line block ×4, first 2 shown]
	v_add_f64 v[16:17], v[52:53], -v[54:55]
	v_add_f64 v[18:19], v[56:57], -v[58:59]
	;; [unrolled: 1-line block ×3, first 2 shown]
	v_add_f64 v[22:23], v[0:1], v[8:9]
	v_add_f64 v[28:29], v[54:55], v[52:53]
	v_add_f64 v[0:1], v[8:9], -v[0:1]
	v_add_f64 v[8:9], v[10:11], -v[12:13]
	v_add_f64 v[36:37], v[24:25], v[26:27]
	v_add_f64 v[42:43], v[30:31], v[32:33]
	v_add_f64 v[12:13], v[2:3], -v[14:15]
	v_add_f64 v[2:3], v[16:17], v[18:19]
	v_add_f64 v[10:11], v[16:17], -v[18:19]
	v_add_f64 v[14:15], v[20:21], -v[16:17]
	;; [unrolled: 1-line block ×6, first 2 shown]
	v_add_f64 v[44:45], v[0:1], v[8:9]
	v_add_f64 v[18:19], v[18:19], -v[20:21]
	v_add_f64 v[22:23], v[22:23], v[36:37]
	v_add_f64 v[28:29], v[28:29], v[42:43]
	v_add_f64 v[46:47], v[0:1], -v[8:9]
	v_add_f64 v[48:49], v[12:13], -v[0:1]
	;; [unrolled: 1-line block ×4, first 2 shown]
	v_add_f64 v[20:21], v[2:3], v[20:21]
	v_mul_f64 v[30:31], v[10:11], s[16:17]
	v_mul_f64 v[36:37], v[40:41], s[10:11]
	v_add_f64 v[40:41], v[44:45], v[12:13]
	v_mul_f64 v[44:45], v[18:19], s[6:7]
	v_add_f64 v[2:3], v[6:7], v[22:23]
	v_add_f64 v[0:1], v[4:5], v[28:29]
	v_mul_f64 v[10:11], v[34:35], s[10:11]
	v_mul_f64 v[42:43], v[46:47], s[16:17]
	v_fma_f64 v[46:47], s[24:25], v[14:15], v[30:31]
	v_fma_f64 v[6:7], s[12:13], v[38:39], v[36:37]
	v_fma_f64 v[44:45], v[14:15], s[22:23], -v[44:45]
	v_fma_f64 v[14:15], v[26:27], s[20:21], -v[36:37]
	v_mov_b64_e32 v[36:37], v[2:3]
	v_mov_b64_e32 v[50:51], v[0:1]
	v_add_f64 v[12:13], v[8:9], -v[12:13]
	v_mul_f64 v[32:33], v[16:17], s[12:13]
	v_mul_f64 v[34:35], v[38:39], s[12:13]
	v_fma_f64 v[16:17], s[12:13], v[16:17], v[10:11]
	v_fmac_f64_e32 v[36:37], s[14:15], v[22:23]
	v_fmac_f64_e32 v[50:51], s[14:15], v[28:29]
	v_mul_f64 v[8:9], v[12:13], s[6:7]
	v_fma_f64 v[18:19], v[18:19], s[6:7], -v[30:31]
	v_fma_f64 v[38:39], s[24:25], v[48:49], v[42:43]
	v_fma_f64 v[4:5], v[24:25], s[20:21], -v[10:11]
	v_fmac_f64_e32 v[46:47], s[18:19], v[20:21]
	v_fmac_f64_e32 v[44:45], s[18:19], v[20:21]
	v_add_f64 v[28:29], v[16:17], v[36:37]
	v_add_f64 v[54:55], v[14:15], v[50:51]
	v_fma_f64 v[48:49], v[48:49], s[22:23], -v[8:9]
	v_fma_f64 v[14:15], v[24:25], s[8:9], -v[32:33]
	v_fmac_f64_e32 v[18:19], s[18:19], v[20:21]
	v_fma_f64 v[20:21], v[12:13], s[6:7], -v[42:43]
	v_fma_f64 v[12:13], v[26:27], s[8:9], -v[34:35]
	v_fmac_f64_e32 v[38:39], s[18:19], v[40:41]
	v_add_f64 v[52:53], v[6:7], v[50:51]
	v_add_f64 v[22:23], v[4:5], v[36:37]
	;; [unrolled: 1-line block ×3, first 2 shown]
	v_fmac_f64_e32 v[48:49], s[18:19], v[40:41]
	v_add_f64 v[16:17], v[14:15], v[36:37]
	v_fmac_f64_e32 v[20:21], s[18:19], v[40:41]
	v_add_f64 v[24:25], v[12:13], v[50:51]
	v_add_f64 v[26:27], v[28:29], -v[46:47]
	v_lshl_add_u32 v28, v64, 4, 0
	v_add_f64 v[4:5], v[52:53], -v[38:39]
	v_add_f64 v[10:11], v[44:45], v[22:23]
	v_add_f64 v[8:9], v[54:55], -v[48:49]
	v_add_f64 v[14:15], v[16:17], -v[18:19]
	v_add_f64 v[12:13], v[20:21], v[24:25]
	v_add_f64 v[18:19], v[18:19], v[16:17]
	v_add_f64 v[16:17], v[24:25], -v[20:21]
	v_add_f64 v[22:23], v[22:23], -v[44:45]
	v_add_f64 v[20:21], v[48:49], v[54:55]
	v_add_f64 v[24:25], v[38:39], v[52:53]
	ds_write_b128 v28, v[0:3] offset:21504
	ds_write_b128 v28, v[24:27] offset:22272
	;; [unrolled: 1-line block ×7, first 2 shown]
.LBB0_31:
	s_or_b64 exec, exec, s[26:27]
	v_lshlrev_b32_e32 v28, 2, v84
	v_mov_b32_e32 v29, 0
	v_lshl_add_u64 v[0:1], v[28:29], 4, s[4:5]
	s_movk_i32 s8, 0x1000
	v_add_co_u32_e64 v2, s[2:3], s8, v0
	s_mov_b64 s[6:7], 0x14e0
	s_nop 0
	v_addc_co_u32_e64 v3, s[2:3], 0, v1, s[2:3]
	v_lshl_add_u64 v[0:1], v[0:1], 0, s[6:7]
	v_lshlrev_b32_e32 v28, 2, v90
	s_waitcnt lgkmcnt(0)
	s_barrier
	global_load_dwordx4 v[4:7], v[2:3], off offset:1248
	global_load_dwordx4 v[12:15], v[0:1], off offset:16
	;; [unrolled: 1-line block ×4, first 2 shown]
	v_lshl_add_u64 v[0:1], v[28:29], 4, s[4:5]
	v_add_co_u32_e64 v2, s[2:3], s8, v0
	v_lshlrev_b32_e32 v28, 2, v100
	s_nop 0
	v_addc_co_u32_e64 v3, s[2:3], 0, v1, s[2:3]
	v_lshl_add_u64 v[0:1], v[0:1], 0, s[6:7]
	global_load_dwordx4 v[24:27], v[2:3], off offset:1248
	global_load_dwordx4 v[30:33], v[0:1], off offset:16
	;; [unrolled: 1-line block ×4, first 2 shown]
	v_lshl_add_u64 v[0:1], v[28:29], 4, s[4:5]
	v_add_co_u32_e64 v2, s[2:3], s8, v0
	s_mov_b32 s11, 0x3fee6f0e
	s_nop 0
	v_addc_co_u32_e64 v3, s[2:3], 0, v1, s[2:3]
	global_load_dwordx4 v[42:45], v[2:3], off offset:1248
	v_lshl_add_u64 v[0:1], v[0:1], 0, s[6:7]
	global_load_dwordx4 v[46:49], v[0:1], off offset:16
	global_load_dwordx4 v[50:53], v[0:1], off offset:32
	;; [unrolled: 1-line block ×3, first 2 shown]
	ds_read_b128 v[58:61], v89
	ds_read_b128 v[8:11], v104
	ds_read_b128 v[62:65], v104 offset:7168
	ds_read_b128 v[66:69], v104 offset:21504
	;; [unrolled: 1-line block ×3, first 2 shown]
	ds_read_b128 v[74:77], v108
	ds_read_b128 v[0:3], v93
	ds_read_b128 v[78:81], v104 offset:12544
	ds_read_b128 v[110:113], v104 offset:8960
	;; [unrolled: 1-line block ×6, first 2 shown]
	s_mov_b32 s6, 0x134454ff
	s_mov_b32 s7, 0xbfee6f0e
	;; [unrolled: 1-line block ×9, first 2 shown]
	s_add_u32 s4, s4, 0x68e0
	s_addc_u32 s5, s5, 0
	s_waitcnt vmcnt(10) lgkmcnt(12)
	v_mul_f64 v[130:131], v[60:61], v[14:15]
	s_waitcnt lgkmcnt(7)
	v_mul_f64 v[82:83], v[76:77], v[6:7]
	v_mul_f64 v[6:7], v[74:75], v[6:7]
	;; [unrolled: 1-line block ×3, first 2 shown]
	v_fmac_f64_e32 v[82:83], v[74:75], v[4:5]
	v_fma_f64 v[102:103], v[76:77], v[4:5], -v[6:7]
	ds_read_b128 v[4:7], v95
	ds_read_b128 v[74:77], v104 offset:25088
	s_waitcnt vmcnt(9) lgkmcnt(5)
	v_mul_f64 v[132:133], v[116:117], v[18:19]
	v_fmac_f64_e32 v[130:131], v[58:59], v[12:13]
	v_fma_f64 v[58:59], v[60:61], v[12:13], -v[14:15]
	v_mul_f64 v[12:13], v[114:115], v[18:19]
	s_waitcnt vmcnt(8)
	v_mul_f64 v[60:61], v[68:69], v[22:23]
	v_mul_f64 v[14:15], v[66:67], v[22:23]
	v_fmac_f64_e32 v[132:133], v[114:115], v[16:17]
	v_fma_f64 v[114:115], v[116:117], v[16:17], -v[12:13]
	v_fmac_f64_e32 v[60:61], v[66:67], v[20:21]
	v_fma_f64 v[66:67], v[68:69], v[20:21], -v[14:15]
	s_waitcnt vmcnt(7)
	v_mul_f64 v[68:69], v[64:65], v[26:27]
	v_mul_f64 v[12:13], v[62:63], v[26:27]
	s_waitcnt vmcnt(6)
	v_mul_f64 v[116:117], v[80:81], v[32:33]
	v_mul_f64 v[14:15], v[78:79], v[32:33]
	v_fmac_f64_e32 v[68:69], v[62:63], v[24:25]
	v_fma_f64 v[62:63], v[64:65], v[24:25], -v[12:13]
	s_waitcnt vmcnt(3)
	v_mul_f64 v[12:13], v[110:111], v[44:45]
	v_fmac_f64_e32 v[116:117], v[78:79], v[30:31]
	v_fma_f64 v[64:65], v[80:81], v[30:31], -v[14:15]
	v_fma_f64 v[30:31], v[112:113], v[42:43], -v[12:13]
	s_waitcnt vmcnt(2) lgkmcnt(4)
	v_mul_f64 v[12:13], v[118:119], v[48:49]
	s_waitcnt lgkmcnt(3)
	v_mul_f64 v[134:135], v[124:125], v[36:37]
	v_mul_f64 v[16:17], v[122:123], v[36:37]
	v_fma_f64 v[32:33], v[120:121], v[46:47], -v[12:13]
	s_waitcnt vmcnt(1) lgkmcnt(2)
	v_mul_f64 v[12:13], v[126:127], v[52:53]
	v_fmac_f64_e32 v[134:135], v[122:123], v[34:35]
	v_fma_f64 v[78:79], v[124:125], v[34:35], -v[16:17]
	v_fma_f64 v[34:35], v[128:129], v[50:51], -v[12:13]
	s_waitcnt vmcnt(0) lgkmcnt(0)
	v_mul_f64 v[12:13], v[74:75], v[56:57]
	v_fma_f64 v[36:37], v[76:77], v[54:55], -v[12:13]
	v_add_f64 v[12:13], v[8:9], v[82:83]
	v_add_f64 v[12:13], v[12:13], v[130:131]
	;; [unrolled: 1-line block ×5, first 2 shown]
	v_mul_f64 v[136:137], v[72:73], v[40:41]
	v_mul_f64 v[18:19], v[70:71], v[40:41]
	v_fma_f64 v[12:13], -0.5, v[12:13], v[8:9]
	v_add_f64 v[14:15], v[102:103], -v[66:67]
	v_fmac_f64_e32 v[136:137], v[70:71], v[38:39]
	v_fma_f64 v[70:71], v[72:73], v[38:39], -v[18:19]
	v_fma_f64 v[20:21], s[6:7], v[14:15], v[12:13]
	v_add_f64 v[18:19], v[58:59], -v[114:115]
	v_add_f64 v[22:23], v[82:83], -v[130:131]
	;; [unrolled: 1-line block ×3, first 2 shown]
	v_fmac_f64_e32 v[12:13], s[10:11], v[14:15]
	v_fmac_f64_e32 v[20:21], s[2:3], v[18:19]
	v_add_f64 v[22:23], v[22:23], v[24:25]
	v_fmac_f64_e32 v[12:13], s[12:13], v[18:19]
	v_fmac_f64_e32 v[20:21], s[8:9], v[22:23]
	v_fmac_f64_e32 v[12:13], s[8:9], v[22:23]
	v_add_f64 v[22:23], v[82:83], v[60:61]
	v_fmac_f64_e32 v[8:9], -0.5, v[22:23]
	v_fma_f64 v[24:25], s[10:11], v[18:19], v[8:9]
	v_fmac_f64_e32 v[8:9], s[6:7], v[18:19]
	v_fmac_f64_e32 v[24:25], s[2:3], v[14:15]
	;; [unrolled: 1-line block ×3, first 2 shown]
	v_add_f64 v[14:15], v[10:11], v[102:103]
	v_add_f64 v[14:15], v[14:15], v[58:59]
	v_add_f64 v[14:15], v[14:15], v[114:115]
	v_mul_f64 v[38:39], v[112:113], v[44:45]
	v_mul_f64 v[40:41], v[120:121], v[48:49]
	v_add_f64 v[22:23], v[130:131], -v[82:83]
	v_add_f64 v[26:27], v[132:133], -v[60:61]
	v_add_f64 v[18:19], v[14:15], v[66:67]
	v_add_f64 v[14:15], v[58:59], v[114:115]
	v_fmac_f64_e32 v[38:39], v[110:111], v[42:43]
	v_fmac_f64_e32 v[40:41], v[118:119], v[46:47]
	v_mul_f64 v[42:43], v[128:129], v[52:53]
	v_add_f64 v[22:23], v[22:23], v[26:27]
	v_fma_f64 v[14:15], -0.5, v[14:15], v[10:11]
	v_add_f64 v[46:47], v[82:83], -v[60:61]
	v_fmac_f64_e32 v[42:43], v[126:127], v[50:51]
	v_fmac_f64_e32 v[24:25], s[8:9], v[22:23]
	;; [unrolled: 1-line block ×3, first 2 shown]
	v_fma_f64 v[22:23], s[10:11], v[46:47], v[14:15]
	v_add_f64 v[48:49], v[130:131], -v[132:133]
	v_add_f64 v[26:27], v[102:103], -v[58:59]
	;; [unrolled: 1-line block ×3, first 2 shown]
	v_fmac_f64_e32 v[14:15], s[6:7], v[46:47]
	v_fmac_f64_e32 v[22:23], s[12:13], v[48:49]
	v_add_f64 v[26:27], v[26:27], v[50:51]
	v_fmac_f64_e32 v[14:15], s[2:3], v[48:49]
	v_fmac_f64_e32 v[22:23], s[8:9], v[26:27]
	v_fmac_f64_e32 v[14:15], s[8:9], v[26:27]
	v_add_f64 v[26:27], v[102:103], v[66:67]
	v_fmac_f64_e32 v[10:11], -0.5, v[26:27]
	v_fma_f64 v[26:27], s[6:7], v[48:49], v[10:11]
	v_add_f64 v[50:51], v[58:59], -v[102:103]
	v_add_f64 v[52:53], v[114:115], -v[66:67]
	v_fmac_f64_e32 v[10:11], s[10:11], v[48:49]
	v_fmac_f64_e32 v[26:27], s[12:13], v[46:47]
	v_add_f64 v[50:51], v[50:51], v[52:53]
	v_fmac_f64_e32 v[10:11], s[2:3], v[46:47]
	v_add_f64 v[48:49], v[116:117], v[134:135]
	v_mul_f64 v[44:45], v[76:77], v[56:57]
	v_fmac_f64_e32 v[26:27], s[8:9], v[50:51]
	v_fmac_f64_e32 v[10:11], s[8:9], v[50:51]
	v_fma_f64 v[50:51], -0.5, v[48:49], v[4:5]
	v_add_f64 v[48:49], v[62:63], -v[70:71]
	v_fmac_f64_e32 v[44:45], v[74:75], v[54:55]
	v_fma_f64 v[54:55], s[6:7], v[48:49], v[50:51]
	v_add_f64 v[52:53], v[64:65], -v[78:79]
	v_add_f64 v[56:57], v[68:69], -v[116:117]
	;; [unrolled: 1-line block ×3, first 2 shown]
	v_fmac_f64_e32 v[50:51], s[10:11], v[48:49]
	v_fmac_f64_e32 v[54:55], s[2:3], v[52:53]
	v_add_f64 v[56:57], v[56:57], v[58:59]
	v_fmac_f64_e32 v[50:51], s[12:13], v[52:53]
	v_fmac_f64_e32 v[54:55], s[8:9], v[56:57]
	;; [unrolled: 1-line block ×3, first 2 shown]
	v_add_f64 v[56:57], v[68:69], v[136:137]
	v_add_f64 v[46:47], v[4:5], v[68:69]
	v_fmac_f64_e32 v[4:5], -0.5, v[56:57]
	v_fma_f64 v[58:59], s[10:11], v[52:53], v[4:5]
	v_add_f64 v[56:57], v[116:117], -v[68:69]
	v_add_f64 v[60:61], v[134:135], -v[136:137]
	v_fmac_f64_e32 v[4:5], s[6:7], v[52:53]
	v_add_f64 v[52:53], v[64:65], v[78:79]
	v_fmac_f64_e32 v[58:59], s[2:3], v[48:49]
	v_add_f64 v[56:57], v[56:57], v[60:61]
	v_fmac_f64_e32 v[4:5], s[12:13], v[48:49]
	v_fma_f64 v[52:53], -0.5, v[52:53], v[6:7]
	v_add_f64 v[66:67], v[68:69], -v[136:137]
	v_fmac_f64_e32 v[58:59], s[8:9], v[56:57]
	v_fmac_f64_e32 v[4:5], s[8:9], v[56:57]
	v_fma_f64 v[56:57], s[10:11], v[66:67], v[52:53]
	v_add_f64 v[68:69], v[116:117], -v[134:135]
	v_add_f64 v[60:61], v[62:63], -v[64:65]
	;; [unrolled: 1-line block ×3, first 2 shown]
	v_fmac_f64_e32 v[52:53], s[6:7], v[66:67]
	v_fmac_f64_e32 v[56:57], s[12:13], v[68:69]
	v_add_f64 v[60:61], v[60:61], v[72:73]
	v_fmac_f64_e32 v[52:53], s[2:3], v[68:69]
	v_add_f64 v[48:49], v[6:7], v[62:63]
	v_fmac_f64_e32 v[56:57], s[8:9], v[60:61]
	v_fmac_f64_e32 v[52:53], s[8:9], v[60:61]
	v_add_f64 v[60:61], v[62:63], v[70:71]
	v_add_f64 v[48:49], v[48:49], v[64:65]
	v_fmac_f64_e32 v[6:7], -0.5, v[60:61]
	v_add_f64 v[62:63], v[64:65], -v[62:63]
	v_add_f64 v[64:65], v[78:79], -v[70:71]
	v_fma_f64 v[60:61], s[6:7], v[68:69], v[6:7]
	v_add_f64 v[62:63], v[62:63], v[64:65]
	v_fmac_f64_e32 v[6:7], s[10:11], v[68:69]
	v_add_f64 v[64:65], v[40:41], v[42:43]
	v_add_f64 v[48:49], v[48:49], v[78:79]
	v_fmac_f64_e32 v[60:61], s[12:13], v[66:67]
	v_fmac_f64_e32 v[6:7], s[2:3], v[66:67]
	v_fma_f64 v[66:67], -0.5, v[64:65], v[0:1]
	v_add_f64 v[64:65], v[30:31], -v[36:37]
	v_add_f64 v[48:49], v[48:49], v[70:71]
	v_fma_f64 v[70:71], s[6:7], v[64:65], v[66:67]
	v_add_f64 v[68:69], v[32:33], -v[34:35]
	v_add_f64 v[72:73], v[38:39], -v[40:41]
	;; [unrolled: 1-line block ×3, first 2 shown]
	v_fmac_f64_e32 v[66:67], s[10:11], v[64:65]
	v_fmac_f64_e32 v[70:71], s[2:3], v[68:69]
	v_add_f64 v[72:73], v[72:73], v[74:75]
	v_fmac_f64_e32 v[66:67], s[12:13], v[68:69]
	v_fmac_f64_e32 v[70:71], s[8:9], v[72:73]
	;; [unrolled: 1-line block ×3, first 2 shown]
	v_add_f64 v[72:73], v[38:39], v[44:45]
	v_fmac_f64_e32 v[60:61], s[8:9], v[62:63]
	v_fmac_f64_e32 v[6:7], s[8:9], v[62:63]
	v_add_f64 v[62:63], v[0:1], v[38:39]
	v_fmac_f64_e32 v[0:1], -0.5, v[72:73]
	v_add_f64 v[62:63], v[62:63], v[40:41]
	v_fma_f64 v[74:75], s[10:11], v[68:69], v[0:1]
	v_add_f64 v[72:73], v[40:41], -v[38:39]
	v_add_f64 v[76:77], v[42:43], -v[44:45]
	v_fmac_f64_e32 v[0:1], s[6:7], v[68:69]
	v_add_f64 v[68:69], v[32:33], v[34:35]
	v_add_f64 v[62:63], v[62:63], v[42:43]
	v_fmac_f64_e32 v[74:75], s[2:3], v[64:65]
	v_add_f64 v[72:73], v[72:73], v[76:77]
	v_fmac_f64_e32 v[0:1], s[12:13], v[64:65]
	v_fma_f64 v[68:69], -0.5, v[68:69], v[2:3]
	v_add_f64 v[38:39], v[38:39], -v[44:45]
	v_add_f64 v[62:63], v[62:63], v[44:45]
	v_fmac_f64_e32 v[74:75], s[8:9], v[72:73]
	v_fmac_f64_e32 v[0:1], s[8:9], v[72:73]
	v_fma_f64 v[72:73], s[10:11], v[38:39], v[68:69]
	v_add_f64 v[40:41], v[40:41], -v[42:43]
	v_add_f64 v[42:43], v[30:31], -v[32:33]
	;; [unrolled: 1-line block ×3, first 2 shown]
	v_fmac_f64_e32 v[68:69], s[6:7], v[38:39]
	v_fmac_f64_e32 v[72:73], s[12:13], v[40:41]
	v_add_f64 v[42:43], v[42:43], v[44:45]
	v_fmac_f64_e32 v[68:69], s[2:3], v[40:41]
	v_fmac_f64_e32 v[72:73], s[8:9], v[42:43]
	;; [unrolled: 1-line block ×3, first 2 shown]
	v_add_f64 v[42:43], v[30:31], v[36:37]
	v_add_f64 v[64:65], v[2:3], v[30:31]
	v_fmac_f64_e32 v[2:3], -0.5, v[42:43]
	v_add_f64 v[64:65], v[64:65], v[32:33]
	v_fma_f64 v[76:77], s[6:7], v[40:41], v[2:3]
	v_add_f64 v[30:31], v[32:33], -v[30:31]
	v_add_f64 v[32:33], v[34:35], -v[36:37]
	v_fmac_f64_e32 v[2:3], s[10:11], v[40:41]
	v_add_f64 v[46:47], v[46:47], v[116:117]
	v_add_f64 v[30:31], v[30:31], v[32:33]
	v_fmac_f64_e32 v[2:3], s[2:3], v[38:39]
	v_add_f64 v[46:47], v[46:47], v[134:135]
	v_add_f64 v[64:65], v[64:65], v[34:35]
	v_fmac_f64_e32 v[76:77], s[12:13], v[38:39]
	v_fmac_f64_e32 v[2:3], s[8:9], v[30:31]
	v_add_f64 v[46:47], v[46:47], v[136:137]
	v_add_f64 v[64:65], v[64:65], v[36:37]
	v_fmac_f64_e32 v[76:77], s[8:9], v[30:31]
	s_barrier
	ds_write_b128 v104, v[16:19]
	ds_write_b128 v104, v[20:23] offset:5376
	ds_write_b128 v104, v[24:27] offset:10752
	ds_write_b128 v104, v[8:11] offset:16128
	ds_write_b128 v104, v[12:15] offset:21504
	ds_write_b128 v95, v[46:49]
	ds_write_b128 v95, v[54:57] offset:5376
	ds_write_b128 v95, v[58:61] offset:10752
	ds_write_b128 v95, v[4:7] offset:16128
	ds_write_b128 v95, v[50:53] offset:21504
	;; [unrolled: 5-line block ×3, first 2 shown]
	s_waitcnt lgkmcnt(0)
	s_barrier
	ds_read_b128 v[0:3], v104
	v_sub_u32_e32 v10, 0, v85
	v_cmp_ne_u32_e64 s[2:3], 0, v84
                                        ; implicit-def: $vgpr6_vgpr7
                                        ; implicit-def: $vgpr8_vgpr9
	s_and_saveexec_b64 s[6:7], s[2:3]
	s_xor_b64 s[2:3], exec, s[6:7]
	s_cbranch_execz .LBB0_33
; %bb.32:
	v_mov_b32_e32 v85, v29
	v_lshl_add_u64 v[4:5], v[84:85], 4, s[4:5]
	global_load_dwordx4 v[6:9], v[4:5], off
	ds_read_b128 v[12:15], v10 offset:26880
	s_waitcnt lgkmcnt(0)
	v_add_f64 v[4:5], v[0:1], v[12:13]
	v_add_f64 v[0:1], v[0:1], -v[12:13]
	v_mul_f64 v[0:1], v[0:1], 0.5
	v_add_f64 v[16:17], v[2:3], v[14:15]
	v_add_f64 v[2:3], v[2:3], -v[14:15]
	v_mul_f64 v[12:13], v[16:17], 0.5
	v_mul_f64 v[2:3], v[2:3], 0.5
	s_waitcnt vmcnt(0)
	v_mul_f64 v[14:15], v[0:1], v[8:9]
	v_fma_f64 v[18:19], 0.5, v[4:5], v[14:15]
	v_fma_f64 v[16:17], v[12:13], v[8:9], v[2:3]
	v_fma_f64 v[2:3], v[12:13], v[8:9], -v[2:3]
	v_fma_f64 v[4:5], v[4:5], 0.5, -v[14:15]
	v_fmac_f64_e32 v[18:19], v[12:13], v[6:7]
	v_fma_f64 v[8:9], -v[6:7], v[0:1], v[16:17]
	v_fma_f64 v[4:5], -v[12:13], v[6:7], v[4:5]
	ds_write_b64 v104, v[18:19]
	v_fma_f64 v[6:7], -v[6:7], v[0:1], v[2:3]
                                        ; implicit-def: $vgpr0_vgpr1
.LBB0_33:
	s_andn2_saveexec_b64 s[2:3], s[2:3]
	s_cbranch_execz .LBB0_35
; %bb.34:
	v_mov_b32_e32 v11, 0
	ds_read_b64 v[6:7], v11 offset:13448
	v_mov_b64_e32 v[8:9], 0
	s_waitcnt lgkmcnt(1)
	v_add_f64 v[12:13], v[0:1], v[2:3]
	v_add_f64 v[4:5], v[0:1], -v[2:3]
	ds_write_b64 v104, v[12:13]
	s_waitcnt lgkmcnt(1)
	v_xor_b32_e32 v7, 0x80000000, v7
	ds_write_b64 v11, v[6:7] offset:13448
	v_mov_b64_e32 v[6:7], v[8:9]
.LBB0_35:
	s_or_b64 exec, exec, s[2:3]
	v_mov_b32_e32 v91, 0
	s_waitcnt lgkmcnt(0)
	v_lshl_add_u64 v[0:1], v[90:91], 4, s[4:5]
	global_load_dwordx4 v[12:15], v[0:1], off
	v_mov_b32_e32 v101, v91
	v_lshl_add_u64 v[0:1], v[100:101], 4, s[4:5]
	global_load_dwordx4 v[16:19], v[0:1], off
	v_mov_b32_e32 v99, v91
	v_lshl_add_u64 v[0:1], v[98:99], 4, s[4:5]
	global_load_dwordx4 v[0:3], v[0:1], off
	ds_write_b64 v104, v[8:9] offset:8
	ds_write_b128 v10, v[4:7] offset:26880
	v_mov_b32_e32 v97, v91
	ds_read_b128 v[4:7], v95
	ds_read_b128 v[20:23], v10 offset:25088
	v_lshl_add_u64 v[8:9], v[96:97], 4, s[4:5]
	global_load_dwordx4 v[24:27], v[8:9], off
	s_waitcnt lgkmcnt(0)
	v_add_f64 v[8:9], v[4:5], v[20:21]
	v_add_f64 v[4:5], v[4:5], -v[20:21]
	v_add_f64 v[28:29], v[6:7], v[22:23]
	v_add_f64 v[6:7], v[6:7], -v[22:23]
	v_mul_f64 v[22:23], v[4:5], 0.5
	v_mul_f64 v[20:21], v[28:29], 0.5
	;; [unrolled: 1-line block ×3, first 2 shown]
	s_waitcnt vmcnt(3)
	v_mul_f64 v[28:29], v[22:23], v[14:15]
	v_fma_f64 v[6:7], v[20:21], v[14:15], v[4:5]
	v_fma_f64 v[14:15], v[20:21], v[14:15], -v[4:5]
	v_fma_f64 v[4:5], 0.5, v[8:9], v[28:29]
	v_fma_f64 v[6:7], -v[12:13], v[22:23], v[6:7]
	v_fma_f64 v[8:9], v[8:9], 0.5, -v[28:29]
	v_fmac_f64_e32 v[4:5], v[20:21], v[12:13]
	v_fma_f64 v[14:15], -v[12:13], v[22:23], v[14:15]
	v_fma_f64 v[12:13], -v[20:21], v[12:13], v[8:9]
	ds_write_b128 v95, v[4:7]
	ds_write_b128 v10, v[12:15] offset:25088
	v_mov_b32_e32 v95, v91
	ds_read_b128 v[4:7], v93
	ds_read_b128 v[12:15], v10 offset:23296
	v_lshl_add_u64 v[8:9], v[94:95], 4, s[4:5]
	global_load_dwordx4 v[20:23], v[8:9], off
	s_waitcnt lgkmcnt(0)
	v_add_f64 v[8:9], v[4:5], v[12:13]
	v_add_f64 v[4:5], v[4:5], -v[12:13]
	v_add_f64 v[28:29], v[6:7], v[14:15]
	v_add_f64 v[6:7], v[6:7], -v[14:15]
	v_mul_f64 v[14:15], v[4:5], 0.5
	v_mul_f64 v[12:13], v[28:29], 0.5
	;; [unrolled: 1-line block ×3, first 2 shown]
	s_waitcnt vmcnt(3)
	v_mul_f64 v[28:29], v[14:15], v[18:19]
	v_fma_f64 v[6:7], v[12:13], v[18:19], v[4:5]
	v_fma_f64 v[18:19], v[12:13], v[18:19], -v[4:5]
	v_fma_f64 v[4:5], 0.5, v[8:9], v[28:29]
	v_fma_f64 v[6:7], -v[16:17], v[14:15], v[6:7]
	v_fma_f64 v[8:9], v[8:9], 0.5, -v[28:29]
	v_fmac_f64_e32 v[4:5], v[12:13], v[16:17]
	v_fma_f64 v[14:15], -v[16:17], v[14:15], v[18:19]
	v_fma_f64 v[12:13], -v[12:13], v[16:17], v[8:9]
	ds_write_b128 v93, v[4:7]
	ds_write_b128 v10, v[12:15] offset:23296
	v_mov_b32_e32 v93, v91
	v_lshl_add_u64 v[8:9], v[92:93], 4, s[4:5]
	ds_read_b128 v[4:7], v108
	ds_read_b128 v[12:15], v10 offset:21504
	global_load_dwordx4 v[16:19], v[8:9], off
	s_waitcnt lgkmcnt(0)
	v_add_f64 v[8:9], v[4:5], v[12:13]
	v_add_f64 v[4:5], v[4:5], -v[12:13]
	v_add_f64 v[28:29], v[6:7], v[14:15]
	v_add_f64 v[6:7], v[6:7], -v[14:15]
	v_mul_f64 v[14:15], v[4:5], 0.5
	v_mul_f64 v[12:13], v[28:29], 0.5
	v_mul_f64 v[4:5], v[6:7], 0.5
	s_waitcnt vmcnt(3)
	v_mul_f64 v[6:7], v[14:15], v[2:3]
	v_fma_f64 v[28:29], v[12:13], v[2:3], v[4:5]
	v_fma_f64 v[30:31], v[12:13], v[2:3], -v[4:5]
	v_fma_f64 v[2:3], 0.5, v[8:9], v[6:7]
	v_fma_f64 v[4:5], -v[0:1], v[14:15], v[28:29]
	v_fma_f64 v[6:7], v[8:9], 0.5, -v[6:7]
	v_fmac_f64_e32 v[2:3], v[12:13], v[0:1]
	v_fma_f64 v[8:9], -v[0:1], v[14:15], v[30:31]
	v_fma_f64 v[6:7], -v[12:13], v[0:1], v[6:7]
	ds_write_b128 v108, v[2:5]
	ds_write_b128 v10, v[6:9] offset:21504
	ds_read_b128 v[0:3], v107
	ds_read_b128 v[4:7], v10 offset:19712
	s_waitcnt lgkmcnt(0)
	v_add_f64 v[8:9], v[0:1], v[4:5]
	v_add_f64 v[0:1], v[0:1], -v[4:5]
	v_add_f64 v[12:13], v[2:3], v[6:7]
	v_add_f64 v[2:3], v[2:3], -v[6:7]
	v_mul_f64 v[6:7], v[0:1], 0.5
	v_mul_f64 v[4:5], v[12:13], 0.5
	v_mul_f64 v[0:1], v[2:3], 0.5
	s_waitcnt vmcnt(2)
	v_mul_f64 v[12:13], v[6:7], v[26:27]
	v_fma_f64 v[2:3], v[4:5], v[26:27], v[0:1]
	v_fma_f64 v[14:15], v[4:5], v[26:27], -v[0:1]
	v_fma_f64 v[0:1], 0.5, v[8:9], v[12:13]
	v_fma_f64 v[2:3], -v[24:25], v[6:7], v[2:3]
	v_fma_f64 v[8:9], v[8:9], 0.5, -v[12:13]
	v_fmac_f64_e32 v[0:1], v[4:5], v[24:25]
	v_fma_f64 v[6:7], -v[24:25], v[6:7], v[14:15]
	v_fma_f64 v[4:5], -v[4:5], v[24:25], v[8:9]
	ds_write_b128 v107, v[0:3]
	ds_write_b128 v10, v[4:7] offset:19712
	ds_read_b128 v[0:3], v106
	ds_read_b128 v[4:7], v10 offset:17920
	s_waitcnt lgkmcnt(0)
	v_add_f64 v[8:9], v[0:1], v[4:5]
	v_add_f64 v[0:1], v[0:1], -v[4:5]
	v_add_f64 v[12:13], v[2:3], v[6:7]
	v_add_f64 v[2:3], v[2:3], -v[6:7]
	v_mul_f64 v[6:7], v[0:1], 0.5
	v_mul_f64 v[4:5], v[12:13], 0.5
	v_mul_f64 v[0:1], v[2:3], 0.5
	s_waitcnt vmcnt(1)
	v_mul_f64 v[12:13], v[6:7], v[22:23]
	v_fma_f64 v[2:3], v[4:5], v[22:23], v[0:1]
	v_fma_f64 v[14:15], v[4:5], v[22:23], -v[0:1]
	v_fma_f64 v[0:1], 0.5, v[8:9], v[12:13]
	v_fma_f64 v[2:3], -v[20:21], v[6:7], v[2:3]
	v_fma_f64 v[8:9], v[8:9], 0.5, -v[12:13]
	v_fmac_f64_e32 v[0:1], v[4:5], v[20:21]
	v_fma_f64 v[6:7], -v[20:21], v[6:7], v[14:15]
	v_fma_f64 v[4:5], -v[4:5], v[20:21], v[8:9]
	ds_write_b128 v106, v[0:3]
	ds_write_b128 v10, v[4:7] offset:17920
	ds_read_b128 v[0:3], v89
	ds_read_b128 v[4:7], v10 offset:16128
	s_waitcnt lgkmcnt(0)
	v_add_f64 v[8:9], v[0:1], v[4:5]
	v_add_f64 v[0:1], v[0:1], -v[4:5]
	v_add_f64 v[12:13], v[2:3], v[6:7]
	v_add_f64 v[2:3], v[2:3], -v[6:7]
	v_mul_f64 v[6:7], v[0:1], 0.5
	v_mul_f64 v[4:5], v[12:13], 0.5
	;; [unrolled: 1-line block ×3, first 2 shown]
	s_waitcnt vmcnt(0)
	v_mul_f64 v[12:13], v[6:7], v[18:19]
	v_fma_f64 v[2:3], v[4:5], v[18:19], v[0:1]
	v_fma_f64 v[14:15], v[4:5], v[18:19], -v[0:1]
	v_fma_f64 v[0:1], 0.5, v[8:9], v[12:13]
	v_fma_f64 v[2:3], -v[16:17], v[6:7], v[2:3]
	v_fma_f64 v[8:9], v[8:9], 0.5, -v[12:13]
	v_fmac_f64_e32 v[0:1], v[4:5], v[16:17]
	v_fma_f64 v[6:7], -v[16:17], v[6:7], v[14:15]
	v_fma_f64 v[4:5], -v[4:5], v[16:17], v[8:9]
	ds_write_b128 v89, v[0:3]
	ds_write_b128 v10, v[4:7] offset:16128
	s_and_saveexec_b64 s[2:3], vcc
	s_cbranch_execz .LBB0_37
; %bb.36:
	v_mov_b32_e32 v89, v91
	v_lshl_add_u64 v[0:1], v[88:89], 4, s[4:5]
	global_load_dwordx4 v[0:3], v[0:1], off
	ds_read_b128 v[4:7], v105
	ds_read_b128 v[12:15], v10 offset:14336
	s_waitcnt lgkmcnt(0)
	v_add_f64 v[8:9], v[4:5], v[12:13]
	v_add_f64 v[4:5], v[4:5], -v[12:13]
	v_add_f64 v[16:17], v[6:7], v[14:15]
	v_add_f64 v[6:7], v[6:7], -v[14:15]
	v_mul_f64 v[14:15], v[4:5], 0.5
	v_mul_f64 v[12:13], v[16:17], 0.5
	;; [unrolled: 1-line block ×3, first 2 shown]
	s_waitcnt vmcnt(0)
	v_mul_f64 v[6:7], v[14:15], v[2:3]
	v_fma_f64 v[16:17], v[12:13], v[2:3], v[4:5]
	v_fma_f64 v[18:19], v[12:13], v[2:3], -v[4:5]
	v_fma_f64 v[2:3], 0.5, v[8:9], v[6:7]
	v_fma_f64 v[4:5], -v[0:1], v[14:15], v[16:17]
	v_fma_f64 v[6:7], v[8:9], 0.5, -v[6:7]
	v_fmac_f64_e32 v[2:3], v[12:13], v[0:1]
	v_fma_f64 v[8:9], -v[0:1], v[14:15], v[18:19]
	v_fma_f64 v[6:7], -v[12:13], v[0:1], v[6:7]
	ds_write_b128 v105, v[2:5]
	ds_write_b128 v10, v[6:9] offset:14336
.LBB0_37:
	s_or_b64 exec, exec, s[2:3]
	s_waitcnt lgkmcnt(0)
	s_barrier
	s_and_saveexec_b64 s[2:3], s[0:1]
	s_cbranch_execz .LBB0_40
; %bb.38:
	ds_read_b128 v[0:3], v104
	ds_read_b128 v[4:7], v104 offset:1792
	v_mov_b32_e32 v85, 0
	ds_read_b128 v[8:11], v104 offset:3584
	v_lshl_add_u64 v[12:13], v[84:85], 4, v[86:87]
	s_movk_i32 s0, 0x6f
	s_waitcnt lgkmcnt(2)
	global_store_dwordx4 v[12:13], v[0:3], off
	s_waitcnt lgkmcnt(1)
	global_store_dwordx4 v[12:13], v[4:7], off offset:1792
	ds_read_b128 v[0:3], v104 offset:5376
	ds_read_b128 v[4:7], v104 offset:7168
	s_waitcnt lgkmcnt(2)
	global_store_dwordx4 v[12:13], v[8:11], off offset:3584
	s_nop 1
	v_add_co_u32_e32 v8, vcc, 0x1000, v12
	v_or_b32_e32 v10, 0x380, v84
	s_nop 0
	v_addc_co_u32_e32 v9, vcc, 0, v13, vcc
	s_waitcnt lgkmcnt(1)
	global_store_dwordx4 v[8:9], v[0:3], off offset:1280
	ds_read_b128 v[0:3], v104 offset:8960
	s_waitcnt lgkmcnt(1)
	global_store_dwordx4 v[8:9], v[4:7], off offset:3072
	ds_read_b128 v[4:7], v104 offset:10752
	v_add_co_u32_e32 v8, vcc, 0x2000, v12
	v_mov_b32_e32 v11, v85
	s_nop 0
	v_addc_co_u32_e32 v9, vcc, 0, v13, vcc
	s_waitcnt lgkmcnt(1)
	global_store_dwordx4 v[8:9], v[0:3], off offset:768
	ds_read_b128 v[0:3], v104 offset:12544
	s_waitcnt lgkmcnt(1)
	global_store_dwordx4 v[8:9], v[4:7], off offset:2560
	v_add_co_u32_e32 v8, vcc, 0x3000, v12
	v_lshl_add_u64 v[10:11], v[10:11], 4, v[86:87]
	s_nop 0
	v_addc_co_u32_e32 v9, vcc, 0, v13, vcc
	s_waitcnt lgkmcnt(0)
	global_store_dwordx4 v[8:9], v[0:3], off offset:256
	ds_read_b128 v[0:3], v104 offset:14336
	ds_read_b128 v[4:7], v104 offset:16128
	s_waitcnt lgkmcnt(1)
	global_store_dwordx4 v[10:11], v[0:3], off
	s_waitcnt lgkmcnt(0)
	global_store_dwordx4 v[8:9], v[4:7], off offset:3840
	ds_read_b128 v[0:3], v104 offset:17920
	ds_read_b128 v[4:7], v104 offset:19712
	v_add_co_u32_e32 v8, vcc, 0x4000, v12
	s_nop 1
	v_addc_co_u32_e32 v9, vcc, 0, v13, vcc
	s_waitcnt lgkmcnt(1)
	global_store_dwordx4 v[8:9], v[0:3], off offset:1536
	s_waitcnt lgkmcnt(0)
	global_store_dwordx4 v[8:9], v[4:7], off offset:3328
	ds_read_b128 v[0:3], v104 offset:21504
	ds_read_b128 v[4:7], v104 offset:23296
	v_add_co_u32_e32 v8, vcc, 0x5000, v12
	s_nop 1
	v_addc_co_u32_e32 v9, vcc, 0, v13, vcc
	s_waitcnt lgkmcnt(1)
	global_store_dwordx4 v[8:9], v[0:3], off offset:1024
	s_waitcnt lgkmcnt(0)
	global_store_dwordx4 v[8:9], v[4:7], off offset:2816
	ds_read_b128 v[0:3], v104 offset:25088
	s_nop 0
	v_add_co_u32_e32 v4, vcc, 0x6000, v12
	s_nop 1
	v_addc_co_u32_e32 v5, vcc, 0, v13, vcc
	v_cmp_eq_u32_e32 vcc, s0, v84
	s_waitcnt lgkmcnt(0)
	global_store_dwordx4 v[4:5], v[0:3], off offset:512
	s_and_b64 exec, exec, vcc
	s_cbranch_execz .LBB0_40
; %bb.39:
	ds_read_b128 v[0:3], v85 offset:26880
	v_add_co_u32_e32 v4, vcc, 0x6000, v86
	s_nop 1
	v_addc_co_u32_e32 v5, vcc, 0, v87, vcc
	s_waitcnt lgkmcnt(0)
	global_store_dwordx4 v[4:5], v[0:3], off offset:2304
.LBB0_40:
	s_endpgm
	.section	.rodata,"a",@progbits
	.p2align	6, 0x0
	.amdhsa_kernel fft_rtc_back_len1680_factors_2_2_2_2_3_7_5_wgs_112_tpt_112_halfLds_dp_ip_CI_unitstride_sbrr_R2C_dirReg
		.amdhsa_group_segment_fixed_size 0
		.amdhsa_private_segment_fixed_size 0
		.amdhsa_kernarg_size 88
		.amdhsa_user_sgpr_count 2
		.amdhsa_user_sgpr_dispatch_ptr 0
		.amdhsa_user_sgpr_queue_ptr 0
		.amdhsa_user_sgpr_kernarg_segment_ptr 1
		.amdhsa_user_sgpr_dispatch_id 0
		.amdhsa_user_sgpr_kernarg_preload_length 0
		.amdhsa_user_sgpr_kernarg_preload_offset 0
		.amdhsa_user_sgpr_private_segment_size 0
		.amdhsa_uses_dynamic_stack 0
		.amdhsa_enable_private_segment 0
		.amdhsa_system_sgpr_workgroup_id_x 1
		.amdhsa_system_sgpr_workgroup_id_y 0
		.amdhsa_system_sgpr_workgroup_id_z 0
		.amdhsa_system_sgpr_workgroup_info 0
		.amdhsa_system_vgpr_workitem_id 0
		.amdhsa_next_free_vgpr 138
		.amdhsa_next_free_sgpr 28
		.amdhsa_accum_offset 140
		.amdhsa_reserve_vcc 1
		.amdhsa_float_round_mode_32 0
		.amdhsa_float_round_mode_16_64 0
		.amdhsa_float_denorm_mode_32 3
		.amdhsa_float_denorm_mode_16_64 3
		.amdhsa_dx10_clamp 1
		.amdhsa_ieee_mode 1
		.amdhsa_fp16_overflow 0
		.amdhsa_tg_split 0
		.amdhsa_exception_fp_ieee_invalid_op 0
		.amdhsa_exception_fp_denorm_src 0
		.amdhsa_exception_fp_ieee_div_zero 0
		.amdhsa_exception_fp_ieee_overflow 0
		.amdhsa_exception_fp_ieee_underflow 0
		.amdhsa_exception_fp_ieee_inexact 0
		.amdhsa_exception_int_div_zero 0
	.end_amdhsa_kernel
	.text
.Lfunc_end0:
	.size	fft_rtc_back_len1680_factors_2_2_2_2_3_7_5_wgs_112_tpt_112_halfLds_dp_ip_CI_unitstride_sbrr_R2C_dirReg, .Lfunc_end0-fft_rtc_back_len1680_factors_2_2_2_2_3_7_5_wgs_112_tpt_112_halfLds_dp_ip_CI_unitstride_sbrr_R2C_dirReg
                                        ; -- End function
	.section	.AMDGPU.csdata,"",@progbits
; Kernel info:
; codeLenInByte = 13928
; NumSgprs: 34
; NumVgprs: 138
; NumAgprs: 0
; TotalNumVgprs: 138
; ScratchSize: 0
; MemoryBound: 0
; FloatMode: 240
; IeeeMode: 1
; LDSByteSize: 0 bytes/workgroup (compile time only)
; SGPRBlocks: 4
; VGPRBlocks: 17
; NumSGPRsForWavesPerEU: 34
; NumVGPRsForWavesPerEU: 138
; AccumOffset: 140
; Occupancy: 3
; WaveLimiterHint : 1
; COMPUTE_PGM_RSRC2:SCRATCH_EN: 0
; COMPUTE_PGM_RSRC2:USER_SGPR: 2
; COMPUTE_PGM_RSRC2:TRAP_HANDLER: 0
; COMPUTE_PGM_RSRC2:TGID_X_EN: 1
; COMPUTE_PGM_RSRC2:TGID_Y_EN: 0
; COMPUTE_PGM_RSRC2:TGID_Z_EN: 0
; COMPUTE_PGM_RSRC2:TIDIG_COMP_CNT: 0
; COMPUTE_PGM_RSRC3_GFX90A:ACCUM_OFFSET: 34
; COMPUTE_PGM_RSRC3_GFX90A:TG_SPLIT: 0
	.text
	.p2alignl 6, 3212836864
	.fill 256, 4, 3212836864
	.type	__hip_cuid_3d2534183831573b,@object ; @__hip_cuid_3d2534183831573b
	.section	.bss,"aw",@nobits
	.globl	__hip_cuid_3d2534183831573b
__hip_cuid_3d2534183831573b:
	.byte	0                               ; 0x0
	.size	__hip_cuid_3d2534183831573b, 1

	.ident	"AMD clang version 19.0.0git (https://github.com/RadeonOpenCompute/llvm-project roc-6.4.0 25133 c7fe45cf4b819c5991fe208aaa96edf142730f1d)"
	.section	".note.GNU-stack","",@progbits
	.addrsig
	.addrsig_sym __hip_cuid_3d2534183831573b
	.amdgpu_metadata
---
amdhsa.kernels:
  - .agpr_count:     0
    .args:
      - .actual_access:  read_only
        .address_space:  global
        .offset:         0
        .size:           8
        .value_kind:     global_buffer
      - .offset:         8
        .size:           8
        .value_kind:     by_value
      - .actual_access:  read_only
        .address_space:  global
        .offset:         16
        .size:           8
        .value_kind:     global_buffer
      - .actual_access:  read_only
        .address_space:  global
        .offset:         24
        .size:           8
        .value_kind:     global_buffer
      - .offset:         32
        .size:           8
        .value_kind:     by_value
      - .actual_access:  read_only
        .address_space:  global
        .offset:         40
        .size:           8
        .value_kind:     global_buffer
      - .actual_access:  read_only
        .address_space:  global
        .offset:         48
        .size:           8
        .value_kind:     global_buffer
      - .offset:         56
        .size:           4
        .value_kind:     by_value
      - .actual_access:  read_only
        .address_space:  global
        .offset:         64
        .size:           8
        .value_kind:     global_buffer
      - .actual_access:  read_only
        .address_space:  global
        .offset:         72
        .size:           8
        .value_kind:     global_buffer
      - .address_space:  global
        .offset:         80
        .size:           8
        .value_kind:     global_buffer
    .group_segment_fixed_size: 0
    .kernarg_segment_align: 8
    .kernarg_segment_size: 88
    .language:       OpenCL C
    .language_version:
      - 2
      - 0
    .max_flat_workgroup_size: 112
    .name:           fft_rtc_back_len1680_factors_2_2_2_2_3_7_5_wgs_112_tpt_112_halfLds_dp_ip_CI_unitstride_sbrr_R2C_dirReg
    .private_segment_fixed_size: 0
    .sgpr_count:     34
    .sgpr_spill_count: 0
    .symbol:         fft_rtc_back_len1680_factors_2_2_2_2_3_7_5_wgs_112_tpt_112_halfLds_dp_ip_CI_unitstride_sbrr_R2C_dirReg.kd
    .uniform_work_group_size: 1
    .uses_dynamic_stack: false
    .vgpr_count:     138
    .vgpr_spill_count: 0
    .wavefront_size: 64
amdhsa.target:   amdgcn-amd-amdhsa--gfx950
amdhsa.version:
  - 1
  - 2
...

	.end_amdgpu_metadata
